;; amdgpu-corpus repo=ROCm/aiter kind=harvested arch=n/a opt=n/a

/root/src/amdgpu-assembly/repos/ROCm__aiter/hsa/gfx950/fmha_v3_bwd/bwd_hd64_bf16_a32_rtne_pssk.co:	file format elf64-amdgpu

Disassembly of section .text:

0000000000004000 <_ZN5aiter42fmha_bwd_hd64_bf16_a32_rtne_pssk_recompileE>:
	s_and_b32 s1, s1, 0xffff                                   // 000000004000: 8601FF01 0000FFFF
	s_load_dwordx2 s[32:33], s[0:1], 0x0                       // 000000004008: C0060800 00000000
	s_load_dwordx2 s[36:37], s[0:1], 0x10                      // 000000004010: C0060900 00000010
	s_load_dwordx2 s[40:41], s[0:1], 0x20                      // 000000004018: C0060A00 00000020
	s_load_dwordx2 s[8:9], s[0:1], 0x30                        // 000000004020: C0060200 00000030
	s_load_dwordx2 s[12:13], s[0:1], 0x40                      // 000000004028: C0060300 00000040
	s_load_dwordx2 s[16:17], s[0:1], 0x50                      // 000000004030: C0060400 00000050
	s_load_dwordx2 s[20:21], s[0:1], 0x60                      // 000000004038: C0060500 00000060
	s_load_dwordx2 s[24:25], s[0:1], 0x70                      // 000000004040: C0060600 00000070
	s_load_dwordx2 s[28:29], s[0:1], 0x80                      // 000000004048: C0060700 00000080
	s_load_dword s47, s[0:1], 0x90                             // 000000004050: C0020BC0 00000090
	s_load_dword s48, s[0:1], 0xa0                             // 000000004058: C0020C00 000000A0
	s_load_dword s49, s[0:1], 0xb0                             // 000000004060: C0020C40 000000B0
	s_load_dword s74, s[0:1], 0xd0                             // 000000004068: C0021280 000000D0
	s_load_dword s75, s[0:1], 0xe0                             // 000000004070: C00212C0 000000E0
	s_load_dword s5, s[0:1], 0xf0                              // 000000004078: C0020140 000000F0
	s_load_dword s44, s[0:1], 0x100                            // 000000004080: C0020B00 00000100
	s_load_dword s76, s[0:1], 0x110                            // 000000004088: C0021300 00000110
	s_load_dword s77, s[0:1], 0x120                            // 000000004090: C0021340 00000120
	s_load_dword s6, s[0:1], 0x130                             // 000000004098: C0020180 00000130
	s_load_dword s52, s[0:1], 0x140                            // 0000000040A0: C0020D00 00000140
	s_load_dword s50, s[0:1], 0x150                            // 0000000040A8: C0020C80 00000150
	s_load_dword s96, s[0:1], 0x180                            // 0000000040B0: C0021800 00000180
	s_load_dword s86, s[0:1], 0x190                            // 0000000040B8: C0021580 00000190
	s_load_dword s87, s[0:1], 0x1a0                            // 0000000040C0: C00215C0 000001A0
	s_load_dword s7, s[0:1], 0x1b0                             // 0000000040C8: C00201C0 000001B0
	s_load_dword s88, s[0:1], 0x1c0                            // 0000000040D0: C0021600 000001C0
	s_load_dword s89, s[0:1], 0x1d0                            // 0000000040D8: C0021640 000001D0
	s_load_dword s51, s[0:1], 0x1e0                            // 0000000040E0: C0020CC0 000001E0
	s_load_dword s90, s[0:1], 0x1f0                            // 0000000040E8: C0021680 000001F0
	s_load_dword s91, s[0:1], 0x200                            // 0000000040F0: C00216C0 00000200
	s_load_dword s92, s[0:1], 0x210                            // 0000000040F8: C0021700 00000210
	s_load_dword s93, s[0:1], 0x220                            // 000000004100: C0021740 00000220
	s_load_dword s53, s[0:1], 0x230                            // 000000004108: C0020D40 00000230
	v_lshrrev_b32_e32 v1, 10, v0                               // 000000004110: 2002008A
	v_lshrrev_b32_e32 v2, 10, v1                               // 000000004114: 2004028A
	v_and_b32_e32 v2, 0x3ff, v2                                // 000000004118: 260404FF 000003FF
	v_and_b32_e32 v1, 0x3ff, v1                                // 000000004120: 260202FF 000003FF
	v_and_b32_e32 v0, 0x3ff, v0                                // 000000004128: 260000FF 000003FF
	v_lshrrev_b32_e32 v3, 6, v0                                // 000000004130: 20060086
	v_and_b32_e32 v0, 63, v0                                   // 000000004134: 260000BF
	s_mov_b32 s2, s2                                           // 000000004138: BE820002
	s_mov_b32 s3, s3                                           // 00000000413C: BE830003
	s_mov_b32 s4, s4                                           // 000000004140: BE840004
	v_readfirstlane_b32 s46, v3                                // 000000004144: 7E5C0503
	s_waitcnt lgkmcnt(0)                                       // 000000004148: BF8CC07F
	s_mov_b32 s11, 0x20000                                     // 00000000414C: BE8B00FF 00020000
	s_mov_b32 s15, 0x20000                                     // 000000004154: BE8F00FF 00020000
	s_mov_b32 s19, 0x20000                                     // 00000000415C: BE9300FF 00020000
	s_mov_b32 s23, 0x20000                                     // 000000004164: BE9700FF 00020000
	s_mov_b32 s27, 0x20000                                     // 00000000416C: BE9B00FF 00020000
	s_mov_b32 s31, 0x20000                                     // 000000004174: BE9F00FF 00020000
	s_mov_b32 s35, 0x20000                                     // 00000000417C: BEA300FF 00020000
	s_mov_b32 s39, 0x20000                                     // 000000004184: BEA700FF 00020000
	s_mov_b32 s43, 0x20000                                     // 00000000418C: BEAB00FF 00020000
	s_and_b32 s9, s9, 0xffff                                   // 000000004194: 8609FF09 0000FFFF
	s_and_b32 s13, s13, 0xffff                                 // 00000000419C: 860DFF0D 0000FFFF
	s_and_b32 s17, s17, 0xffff                                 // 0000000041A4: 8611FF11 0000FFFF
	s_and_b32 s21, s21, 0xffff                                 // 0000000041AC: 8615FF15 0000FFFF
	s_and_b32 s25, s25, 0xffff                                 // 0000000041B4: 8619FF19 0000FFFF
	s_and_b32 s29, s29, 0xffff                                 // 0000000041BC: 861DFF1D 0000FFFF
	s_and_b32 s33, s33, 0xffff                                 // 0000000041C4: 8621FF21 0000FFFF
	s_and_b32 s37, s37, 0xffff                                 // 0000000041CC: 8625FF25 0000FFFF
	s_and_b32 s41, s41, 0xffff                                 // 0000000041D4: 8629FF29 0000FFFF
	s_or_b32 s9, s9, 0x40000                                   // 0000000041DC: 8709FF09 00040000
	s_or_b32 s13, s13, 0x40000                                 // 0000000041E4: 870DFF0D 00040000
	s_or_b32 s17, s17, 0x40000                                 // 0000000041EC: 8711FF11 00040000
	s_or_b32 s21, s21, 0x40000                                 // 0000000041F4: 8715FF15 00040000
	s_or_b32 s25, s25, 0x40000                                 // 0000000041FC: 8719FF19 00040000
	s_or_b32 s29, s29, 0x40000                                 // 000000004204: 871DFF1D 00040000
	s_or_b32 s33, s33, 0x40000                                 // 00000000420C: 8721FF21 00040000
	s_or_b32 s37, s37, 0x40000                                 // 000000004214: 8725FF25 00040000
	s_or_b32 s41, s41, 0x40000                                 // 00000000421C: 8729FF29 00040000
	v_accvgpr_write_b32 a159, 0                                // 000000004224: D3D9409F 18000080
	v_mov_b32_e32 v234, 0                                      // 00000000422C: 7FD40280
	s_mov_b32 s78, s8                                          // 000000004230: BECE0008
	s_mov_b32 s80, s12                                         // 000000004234: BED0000C
	s_mov_b32 s82, s16                                         // 000000004238: BED20010
	s_mov_b32 s84, s20                                         // 00000000423C: BED40014
	s_mov_b32 s79, s9                                          // 000000004240: BECF0009
	s_mov_b32 s81, s13                                         // 000000004244: BED1000D
	s_mov_b32 s83, s17                                         // 000000004248: BED30011
	s_mov_b32 s85, s21                                         // 00000000424C: BED50015
	s_mov_b32 s71, s3                                          // 000000004250: BEC70003
	v_cvt_f32_u32_e32 v32, s44                                 // 000000004254: 7E400C2C
	s_sub_i32 s60, 0, s44                                      // 000000004258: 81BC2C80
	v_rcp_iflag_f32_e32 v32, v32                               // 00000000425C: 7E404720
	s_nop 0                                                    // 000000004260: BF800000
	v_mul_f32_e32 v32, 0x4f7ffffe, v32                         // 000000004264: 0A4040FF 4F7FFFFE
	v_cvt_u32_f32_e32 v32, v32                                 // 00000000426C: 7E400F20
	v_mul_lo_u32 v33, s60, v32                                 // 000000004270: D2850021 0002403C
	v_mul_hi_u32 v33, v32, v33                                 // 000000004278: D2860021 00024320
	v_add_u32_e32 v32, v32, v33                                // 000000004280: 68404320
	v_mul_hi_u32 v32, s71, v32                                 // 000000004284: D2860020 00024047
	v_mul_lo_u32 v33, v32, s44                                 // 00000000428C: D2850021 00005920
	v_sub_u32_e32 v35, s71, v33                                // 000000004294: 6A464247
	v_add_u32_e32 v34, 1, v32                                  // 000000004298: 68444081
	v_cmp_le_u32_e32 vcc, s44, v35                             // 00000000429C: 7D96462C
	v_subrev_u32_e32 v33, s44, v35                             // 0000000042A0: 6C42462C
	s_nop 0                                                    // 0000000042A4: BF800000
	v_cndmask_b32_e32 v32, v32, v34, vcc                       // 0000000042A8: 00404520
	v_cndmask_b32_e32 v35, v35, v33, vcc                       // 0000000042AC: 00464323
	v_add_u32_e32 v33, 1, v32                                  // 0000000042B0: 68424081
	v_cmp_le_u32_e32 vcc, s44, v35                             // 0000000042B4: 7D96462C
	s_nop 1                                                    // 0000000042B8: BF800001
	v_cndmask_b32_e32 v35, v32, v33, vcc                       // 0000000042BC: 00464320
	s_nop 3                                                    // 0000000042C0: BF800003
	v_readfirstlane_b32 s45, v35                               // 0000000042C4: 7E5A0523
	s_nop 3                                                    // 0000000042C8: BF800003
	v_mov_b32_e32 v32, s47                                     // 0000000042CC: 7E40022F
	v_mul_f32_e32 v32, s48, v32                                // 0000000042D0: 0A404030
	s_mov_b32 s66, 0                                           // 0000000042D4: BEC20080
	s_mov_b32 s58, s49                                         // 0000000042D8: BEBA0031
	s_mov_b32 s59, 0                                           // 0000000042DC: BEBB0080
	s_mov_b32 s63, 0x5040100                                   // 0000000042E0: BEBF00FF 05040100
	s_mov_b32 s64, 0x7060302                                   // 0000000042E8: BEC000FF 07060302
	v_readfirstlane_b32 s57, v32                               // 0000000042F0: 7E720520
	v_mov_b32_e32 v34, 0x3020706                               // 0000000042F4: 7E4402FF 03020706
	v_mov_b32_e32 v32, s63                                     // 0000000042FC: 7E40023F
	v_and_b32_e32 v33, 1, v0                                   // 000000004300: 26420081
	v_cmp_eq_u32_e32 vcc, 1, v33                               // 000000004304: 7D944281
	s_mov_b32 s67, 0x800                                       // 000000004308: BEC300FF 00000800
	v_cndmask_b32_e32 v17, v32, v34, vcc                       // 000000004310: 00224520
	v_mov_b32_e32 v230, 0xff800000                             // 000000004314: 7FCC02FF FF800000
	s_mul_i32 s68, 8, s5                                       // 00000000431C: 92440588
	s_mul_i32 s95, 8, s51                                      // 000000004320: 925F3388
	s_mov_b32 s69, 32                                          // 000000004324: BEC500A0
	s_mul_i32 s60, s6, 0xc0                                    // 000000004328: 923CFF06 000000C0
	s_mul_i32 s60, s2, s60                                     // 000000004330: 923C3C02
	s_mul_i32 s61, s45, s76                                    // 000000004334: 923D4C2D
	s_add_u32 s54, s60, s61                                    // 000000004338: 80363D3C
	s_mul_i32 s60, s2, 0xc0                                    // 00000000433C: 923CFF02 000000C0
	s_sub_i32 s60, s50, s60                                    // 000000004344: 81BC3C32
	s_mul_i32 s60, s6, s60                                     // 000000004348: 923C3C06
	s_lshr_b32 s60, s60, 2                                     // 00000000434C: 8F3C823C
	s_mov_b32 s14, s60                                         // 000000004350: BE8E003C
	s_add_u32 s12, s54, s80                                    // 000000004354: 800C5036
	s_addc_u32 s13, 0, s81                                     // 000000004358: 820D5180
	s_mul_i32 s60, s4, s77                                     // 00000000435C: 923C4D04
	s_mul_hi_u32 s61, s4, s77                                  // 000000004360: 963D4D04
	s_and_b32 s61, s61, 0xffff                                 // 000000004364: 863DFF3D 0000FFFF
	s_add_u32 s12, s12, s60                                    // 00000000436C: 800C3C0C
	s_addc_u32 s13, s13, s61                                   // 000000004370: 820D3D0D
	s_mul_i32 s60, s7, 0xc0                                    // 000000004374: 923CFF07 000000C0
	s_mul_i32 s60, s2, s60                                     // 00000000437C: 923C3C02
	s_mul_i32 s61, s45, s86                                    // 000000004380: 923D562D
	s_add_u32 s54, s60, s61                                    // 000000004384: 80363D3C
	s_mul_i32 s60, s2, 0xc0                                    // 000000004388: 923CFF02 000000C0
	s_sub_i32 s60, s50, s60                                    // 000000004390: 81BC3C32
	s_mul_i32 s60, s7, s60                                     // 000000004394: 923C3C07
	s_lshr_b32 s60, s60, 2                                     // 000000004398: 8F3C823C
	s_mov_b32 s18, s60                                         // 00000000439C: BE92003C
	s_add_u32 s16, s54, s82                                    // 0000000043A0: 80105236
	s_addc_u32 s17, 0, s83                                     // 0000000043A4: 82115380
	s_mul_i32 s60, s4, s87                                     // 0000000043A8: 923C5704
	s_mul_hi_u32 s61, s4, s87                                  // 0000000043AC: 963D5704
	s_and_b32 s61, s61, 0xffff                                 // 0000000043B0: 863DFF3D 0000FFFF
	s_add_u32 s16, s16, s60                                    // 0000000043B8: 80103C10
	s_addc_u32 s17, s17, s61                                   // 0000000043BC: 82113D11
	s_mul_i32 s61, s3, s74                                     // 0000000043C0: 923D4A03
	s_mov_b32 s55, s61                                         // 0000000043C4: BEB7003D
	s_mul_i32 s60, s5, s49                                     // 0000000043C8: 923C3105
	s_lshr_b32 s60, s60, 2                                     // 0000000043CC: 8F3C823C
	s_mov_b32 s10, s60                                         // 0000000043D0: BE8A003C
	s_add_u32 s8, s55, s78                                     // 0000000043D4: 80084E37
	s_addc_u32 s9, 0, s79                                      // 0000000043D8: 82094F80
	s_mul_i32 s60, s4, s75                                     // 0000000043DC: 923C4B04
	s_mul_hi_u32 s61, s4, s75                                  // 0000000043E0: 963D4B04
	s_and_b32 s61, s61, 0xffff                                 // 0000000043E4: 863DFF3D 0000FFFF
	s_add_u32 s8, s8, s60                                      // 0000000043EC: 80083C08
	s_addc_u32 s9, s9, s61                                     // 0000000043F0: 82093D09
	s_mul_i32 s61, s3, s88                                     // 0000000043F4: 923D5803
	s_mov_b32 s56, s61                                         // 0000000043F8: BEB8003D
	s_mul_i32 s60, s51, s49                                    // 0000000043FC: 923C3133
	s_lshr_b32 s60, s60, 2                                     // 000000004400: 8F3C823C
	s_mov_b32 s22, s60                                         // 000000004404: BE96003C
	s_add_u32 s20, s56, s84                                    // 000000004408: 80145438
	s_addc_u32 s21, 0, s85                                     // 00000000440C: 82155580
	s_mul_i32 s60, s4, s89                                     // 000000004410: 923C5904
	s_mul_hi_u32 s61, s4, s89                                  // 000000004414: 963D5904
	s_and_b32 s61, s61, 0xffff                                 // 000000004418: 863DFF3D 0000FFFF
	s_add_u32 s20, s20, s60                                    // 000000004420: 80143C14
	s_addc_u32 s21, s21, s61                                   // 000000004424: 82153D15
	s_mul_i32 s62, s4, s96                                     // 000000004428: 923E6004
	s_mul_i32 s62, s62, s49                                    // 00000000442C: 923E313E
	s_lshl_b32 s62, s62, 2                                     // 000000004430: 8E3E823E
	s_mul_i32 s61, s3, s49                                     // 000000004434: 923D3103
	s_mul_i32 s61, 4, s61                                      // 000000004438: 923D3D84
	s_add_u32 s65, s61, s62                                    // 00000000443C: 80413E3D
	s_mul_i32 s60, 4, s49                                      // 000000004440: 923C3184
	s_add_u32 s60, s60, s61                                    // 000000004444: 803C3D3C
	s_add_u32 s60, s60, s62                                    // 000000004448: 803C3E3C
	s_lshr_b32 s60, s60, 2                                     // 00000000444C: 8F3C823C
	s_mov_b32 s26, s60                                         // 000000004450: BE9A003C
	s_mov_b32 s30, s60                                         // 000000004454: BE9E003C
	s_cmp_lt_u32 s46, 2                                        // 000000004458: BF0A822E
	s_cselect_b32 s24, s24, s28                                // 00000000445C: 85181C18
	s_cselect_b32 s25, s25, s29                                // 000000004460: 85191D19
	s_cselect_b32 s26, s26, s30                                // 000000004464: 851A1E1A
	s_cselect_b32 s27, s27, s31                                // 000000004468: 851B1F1B
	s_mov_b32 s71, s6                                          // 00000000446C: BEC70006
	v_lshrrev_b32_e32 v32, 4, v0                               // 000000004470: 20400084
	v_and_b32_e32 v33, 1, v32                                  // 000000004474: 26424081
	v_lshlrev_b32_e32 v33, 1, v33                              // 000000004478: 24424281
	v_mul_i32_i24_e32 v33, s71, v33                            // 00000000447C: 0C424247
	v_and_b32_e32 v34, 2, v32                                  // 000000004480: 26444082
	v_lshlrev_b32_e32 v34, 5, v34                              // 000000004484: 24444485
	v_add_u32_e32 v33, v34, v33                                // 000000004488: 68424322
	v_and_b32_e32 v32, 15, v0                                  // 00000000448C: 2640008F
	v_lshlrev_b32_e32 v32, 2, v32                              // 000000004490: 24404082
	v_add_u32_e32 v1, v32, v33                                 // 000000004494: 68024320
	s_mul_i32 s60, s46, s71                                    // 000000004498: 923C472E
	s_mul_i32 s60, s60, 4                                      // 00000000449C: 923C843C
	v_add_u32_e32 v1, s60, v1                                  // 0000000044A0: 6802023C
	v_add_u32_e32 v2, s71, v1                                  // 0000000044A4: 68040247
	s_mul_i32 s60, 16, s71                                     // 0000000044A8: 923C4790
	v_add_u32_e32 v3, s60, v1                                  // 0000000044AC: 6806023C
	v_add_u32_e32 v4, s60, v2                                  // 0000000044B0: 6808043C
	s_mov_b32 s71, s7                                          // 0000000044B4: BEC70007
	v_lshrrev_b32_e32 v32, 4, v0                               // 0000000044B8: 20400084
	v_and_b32_e32 v33, 1, v32                                  // 0000000044BC: 26424081
	v_lshlrev_b32_e32 v33, 1, v33                              // 0000000044C0: 24424281
	v_mul_i32_i24_e32 v33, s71, v33                            // 0000000044C4: 0C424247
	v_and_b32_e32 v34, 2, v32                                  // 0000000044C8: 26444082
	v_lshlrev_b32_e32 v34, 5, v34                              // 0000000044CC: 24444485
	v_add_u32_e32 v33, v34, v33                                // 0000000044D0: 68424322
	v_and_b32_e32 v32, 15, v0                                  // 0000000044D4: 2640008F
	v_lshlrev_b32_e32 v32, 2, v32                              // 0000000044D8: 24404082
	v_add_u32_e32 v231, v32, v33                               // 0000000044DC: 69CE4320
	s_mul_i32 s60, s46, s71                                    // 0000000044E0: 923C472E
	s_mul_i32 s60, s60, 4                                      // 0000000044E4: 923C843C
	v_add_u32_e32 v231, s60, v231                              // 0000000044E8: 69CFCE3C
	v_add_u32_e32 v232, s71, v231                              // 0000000044EC: 69D1CE47
	s_mul_i32 s60, 16, s71                                     // 0000000044F0: 923C4790
	v_add_u32_e32 v233, s60, v231                              // 0000000044F4: 69D3CE3C
	v_add_u32_e32 v234, s60, v232                              // 0000000044F8: 69D5D03C
	v_lshrrev_b32_e32 v1, 2, v1                                // 0000000044FC: 20020282
	v_lshrrev_b32_e32 v2, 2, v2                                // 000000004500: 20040482
	v_lshrrev_b32_e32 v231, 2, v231                            // 000000004504: 21CFCE82
	v_lshrrev_b32_e32 v232, 2, v232                            // 000000004508: 21D1D082
	v_and_b32_e32 v11, 31, v0                                  // 00000000450C: 2616009F
	v_lshlrev_b32_e32 v11, 2, v11                              // 000000004510: 24161682
	v_add_u32_e32 v11, s65, v11                                // 000000004514: 68161641
	v_lshrrev_b32_e32 v11, 2, v11                              // 000000004518: 20161682
	s_mov_b32 s70, s52                                         // 00000000451C: BEC60034
	v_lshrrev_b32_e32 v32, 3, v0                               // 000000004520: 20400083
	v_mul_i32_i24_e32 v5, s70, v32                             // 000000004524: 0C0A4046
	v_lshrrev_b32_e32 v5, 2, v5                                // 000000004528: 200A0A82
	v_and_b32_e32 v32, 7, v0                                   // 00000000452C: 26400087
	v_lshlrev_b32_e32 v33, 2, v32                              // 000000004530: 24424082
	v_add_u32_e32 v5, v33, v5                                  // 000000004534: 680A0B21
	s_mul_i32 s60, 16, s70                                     // 000000004538: 923C4690
	s_mul_i32 s60, s46, s60                                    // 00000000453C: 923C3C2E
	v_lshlrev_b32_e32 v5, 2, v5                                // 000000004540: 240A0A82
	v_add_u32_e32 v5, s60, v5                                  // 000000004544: 680A0A3C
	s_mul_i32 s60, 0xc0, s52                                   // 000000004548: 923C34FF 000000C0
	s_mul_i32 s60, s2, s60                                     // 000000004550: 923C3C02
	s_mul_i32 s61, s3, s90                                     // 000000004554: 923D5A03
	s_mul_i32 s62, s4, s91                                     // 000000004558: 923E5B04
	s_add_u32 s60, s60, s61                                    // 00000000455C: 803C3D3C
	v_add_u32_e32 v5, s60, v5                                  // 000000004560: 680A0A3C
	v_lshrrev_b32_e32 v5, 2, v5                                // 000000004564: 200A0A82
	s_mul_i32 s60, s50, s52                                    // 000000004568: 923C3432
	s_add_u32 s60, s60, s61                                    // 00000000456C: 803C3D3C
	s_lshr_b32 s60, s60, 2                                     // 000000004570: 8F3C823C
	s_mov_b32 s38, s60                                         // 000000004574: BEA6003C
	s_mul_hi_u32 s60, s4, s91                                  // 000000004578: 963C5B04
	s_and_b32 s60, s60, 0xffff                                 // 00000000457C: 863CFF3C 0000FFFF
	s_add_u32 s36, s62, s36                                    // 000000004584: 8024243E
	s_addc_u32 s37, s60, s37                                   // 000000004588: 8225253C
	s_mov_b32 s70, s53                                         // 00000000458C: BEC60035
	v_lshrrev_b32_e32 v32, 3, v0                               // 000000004590: 20400083
	v_mul_i32_i24_e32 v10, s70, v32                            // 000000004594: 0C144046
	v_lshrrev_b32_e32 v10, 2, v10                              // 000000004598: 20141482
	v_and_b32_e32 v32, 7, v0                                   // 00000000459C: 26400087
	v_lshlrev_b32_e32 v33, 2, v32                              // 0000000045A0: 24424082
	v_add_u32_e32 v10, v33, v10                                // 0000000045A4: 68141521
	s_mul_i32 s60, 16, s70                                     // 0000000045A8: 923C4690
	s_mul_i32 s60, s46, s60                                    // 0000000045AC: 923C3C2E
	v_lshlrev_b32_e32 v10, 2, v10                              // 0000000045B0: 24141482
	v_add_u32_e32 v10, s60, v10                                // 0000000045B4: 6814143C
	s_mul_i32 s60, 0xc0, s53                                   // 0000000045B8: 923C35FF 000000C0
	s_mul_i32 s60, s2, s60                                     // 0000000045C0: 923C3C02
	s_mul_i32 s61, s3, s92                                     // 0000000045C4: 923D5C03
	s_mul_i32 s62, s4, s93                                     // 0000000045C8: 923E5D04
	s_add_u32 s60, s60, s61                                    // 0000000045CC: 803C3D3C
	v_add_u32_e32 v10, s60, v10                                // 0000000045D0: 6814143C
	v_lshrrev_b32_e32 v10, 2, v10                              // 0000000045D4: 20141482
	s_mul_i32 s60, s50, s53                                    // 0000000045D8: 923C3532
	s_add_u32 s60, s60, s61                                    // 0000000045DC: 803C3D3C
	s_lshr_b32 s60, s60, 2                                     // 0000000045E0: 8F3C823C
	s_mov_b32 s42, s60                                         // 0000000045E4: BEAA003C
	s_mul_hi_u32 s60, s4, s93                                  // 0000000045E8: 963C5D04
	s_and_b32 s60, s60, 0xffff                                 // 0000000045EC: 863CFF3C 0000FFFF
	s_add_u32 s40, s62, s40                                    // 0000000045F4: 8028283E
	s_addc_u32 s41, s60, s41                                   // 0000000045F8: 8229293C
	v_lshrrev_b32_e32 v32, 5, v0                               // 0000000045FC: 20400085
	v_mul_i32_i24_e32 v6, 0x80, v32                            // 000000004600: 0C0C40FF 00000080
	v_and_b32_e32 v32, 31, v0                                  // 000000004608: 2640009F
	v_add_u32_e32 v6, v32, v6                                  // 00000000460C: 680C0D20
	s_mul_i32 s60, s46, 0x100                                  // 000000004610: 923CFF2E 00000100
	v_add_u32_e32 v6, s60, v6                                  // 000000004618: 680C0C3C
	v_lshlrev_b32_e32 v6, 2, v6                                // 00000000461C: 240C0C82
	v_add_u32_e32 v7, 0x100, v6                                // 000000004620: 680E0CFF 00000100
	v_add_u32_e32 v8, 0x1000, v6                               // 000000004628: 68100CFF 00001000
	v_add_u32_e32 v9, 0x1000, v7                               // 000000004630: 68120EFF 00001000
	s_mul_i32 s72, 64, s65                                     // 000000004638: 924841C0
	s_mul_hi_u32 s62, 64, s65                                  // 00000000463C: 963E41C0
	s_and_b32 s62, s62, 0xffff                                 // 000000004640: 863EFF3E 0000FFFF
	s_add_u32 s32, s72, s32                                    // 000000004648: 80202048
	s_addc_u32 s33, s62, s33                                   // 00000000464C: 8221213E
	s_mul_i32 s60, 64, s49                                     // 000000004650: 923C31C0
	s_mov_b32 s34, s60                                         // 000000004654: BEA2003C
	v_lshrrev_b32_e32 v6, 2, v6                                // 000000004658: 200C0C82
	v_lshrrev_b32_e32 v7, 2, v7                                // 00000000465C: 200E0E82
	v_lshrrev_b32_e32 v8, 2, v8                                // 000000004660: 20101082
	v_lshrrev_b32_e32 v9, 2, v9                                // 000000004664: 20121282
	s_mul_i32 s60, 3, s2                                       // 000000004668: 923C0283
	s_add_u32 s61, s50, 63                                     // 00000000466C: 803DBF32
	s_lshr_b32 s61, s61, 6                                     // 000000004670: 8F3D863D
	s_sub_i32 s73, s61, s60                                    // 000000004674: 81C93C3D
	s_cmp_lt_i32 s73, 3                                        // 000000004678: BF048349
	s_cselect_b32 s73, s73, 3                                  // 00000000467C: 85498349
	v_mov_b32_e32 v227, 0xffff0000                             // 000000004680: 7FC602FF FFFF0000
	v_mov_b32_e32 v228, 0x7fff0000                             // 000000004688: 7FC802FF 7FFF0000
	v_mov_b32_e32 v229, 0x7fff                                 // 000000004690: 7FCA02FF 00007FFF
	s_mul_i32 s60, 0xc0, s2                                    // 000000004698: 923C02FF 000000C0
	s_sub_i32 s97, s50, s60                                    // 0000000046A0: 81E13C32
	s_lshr_b32 s60, s46, 1                                     // 0000000046A4: 8F3C812E
	s_lshl_b32 s60, s60, 8                                     // 0000000046A8: 8E3C883C
	s_add_u32 s76, 0x9a00, s60                                 // 0000000046AC: 804C3CFF 00009A00
	s_add_u32 s77, 0x200, s76                                  // 0000000046B4: 804D4CFF 00000200
	s_mov_b32 m0, s76                                          // 0000000046BC: BEFC004C
	v_and_b32_e32 v32, 31, v0                                  // 0000000046C0: 2640009F
	v_lshrrev_b32_e32 v32, 1, v32                              // 0000000046C4: 20404081
	v_and_b32_e32 v33, 1, v32                                  // 0000000046C8: 26424081
	v_lshlrev_b32_e32 v33, 4, v33                              // 0000000046CC: 24424284
	v_and_b32_e32 v34, 2, v32                                  // 0000000046D0: 26444082
	v_lshlrev_b32_e32 v34, 2, v34                              // 0000000046D4: 24444482
	v_add_u32_e32 v33, v34, v33                                // 0000000046D8: 68424322
	v_and_b32_e32 v34, 12, v32                                 // 0000000046DC: 2644408C
	v_lshrrev_b32_e32 v34, 1, v34                              // 0000000046E0: 20444481
	v_add_u32_e32 v33, v34, v33                                // 0000000046E4: 68424322
	v_lshrrev_b32_e32 v32, 5, v0                               // 0000000046E8: 20400085
	v_mul_i32_i24_e32 v34, 0x80, v32                           // 0000000046EC: 0C4440FF 00000080
	v_add_u32_e32 v33, v34, v33                                // 0000000046F4: 68424322
	v_and_b32_e32 v34, 1, v0                                   // 0000000046F8: 26440081
	v_add_u32_e32 v13, v34, v33                                // 0000000046FC: 681A4322
	s_mul_i32 s60, s46, 32                                     // 000000004700: 923CA02E
	v_add_u32_e32 v13, s60, v13                                // 000000004704: 681A1A3C
	v_lshlrev_b32_e32 v13, 2, v13                              // 000000004708: 241A1A82
	v_lshrrev_b32_e32 v32, 4, v0                               // 00000000470C: 20400084
	v_and_b32_e32 v33, 1, v32                                  // 000000004710: 26424081
	v_lshlrev_b32_e32 v33, 4, v33                              // 000000004714: 24424284
	v_and_b32_e32 v34, 2, v32                                  // 000000004718: 26444082
	v_mul_i32_i24_e32 v34, 4, v34                              // 00000000471C: 0C444484
	v_add_u32_e32 v33, v34, v33                                // 000000004720: 68424322
	v_and_b32_e32 v32, 15, v0                                  // 000000004724: 2640008F
	v_lshrrev_b32_e32 v34, 2, v32                              // 000000004728: 20444082
	v_lshlrev_b32_e32 v34, 5, v34                              // 00000000472C: 24444485
	v_add_u32_e32 v33, v34, v33                                // 000000004730: 68424322
	v_and_b32_e32 v32, 3, v0                                   // 000000004734: 26400083
	v_and_b32_e32 v34, 1, v32                                  // 000000004738: 26444081
	v_mul_i32_i24_e32 v34, 0x108, v34                          // 00000000473C: 0C4444FF 00000108
	v_add_u32_e32 v33, v34, v33                                // 000000004744: 68424322
	v_and_b32_e32 v34, 2, v32                                  // 000000004748: 26444082
	v_lshlrev_b32_e32 v34, 1, v34                              // 00000000474C: 24444481
	v_add_u32_e32 v12, v34, v33                                // 000000004750: 68184322
	v_lshlrev_b32_e32 v12, 2, v12                              // 000000004754: 24181882
	s_mul_i32 s60, s46, 0x880                                  // 000000004758: 923CFF2E 00000880
	v_add_u32_e32 v24, s60, v12                                // 000000004760: 6830183C
	v_lshrrev_b32_e32 v32, 5, v0                               // 000000004764: 20400085
	v_mul_i32_i24_e32 v15, 0x80, v32                           // 000000004768: 0C1E40FF 00000080
	v_and_b32_e32 v32, 31, v0                                  // 000000004770: 2640009F
	v_and_b32_e32 v33, 7, v32                                  // 000000004774: 26424087
	v_and_b32_e32 v34, 1, v33                                  // 000000004778: 26444281
	v_lshlrev_b32_e32 v34, 2, v34                              // 00000000477C: 24444482
	v_add_u32_e32 v15, v34, v15                                // 000000004780: 681E1F22
	v_and_b32_e32 v34, 2, v33                                  // 000000004784: 26444282
	v_lshlrev_b32_e32 v34, 3, v34                              // 000000004788: 24444483
	v_add_u32_e32 v15, v34, v15                                // 00000000478C: 681E1F22
	v_and_b32_e32 v34, 4, v33                                  // 000000004790: 26444284
	v_lshlrev_b32_e32 v34, 1, v34                              // 000000004794: 24444481
	v_add_u32_e32 v15, v34, v15                                // 000000004798: 681E1F22
	v_lshrrev_b32_e32 v33, 3, v32                              // 00000000479C: 20424083
	v_and_b32_e32 v34, 1, v33                                  // 0000000047A0: 26444281
	v_lshlrev_b32_e32 v34, 1, v34                              // 0000000047A4: 24444481
	v_add_u32_e32 v15, v34, v15                                // 0000000047A8: 681E1F22
	v_and_b32_e32 v34, 2, v33                                  // 0000000047AC: 26444282
	v_lshrrev_b32_e32 v34, 1, v34                              // 0000000047B0: 20444481
	v_add_u32_e32 v15, v34, v15                                // 0000000047B4: 681E1F22
	s_mul_i32 s60, s46, 32                                     // 0000000047B8: 923CA02E
	v_add_u32_e32 v15, s60, v15                                // 0000000047BC: 681E1E3C
	v_lshlrev_b32_e32 v15, 2, v15                              // 0000000047C0: 241E1E82
	v_and_b32_e32 v32, 15, v0                                  // 0000000047C4: 2640008F
	v_and_b32_e32 v34, 1, v32                                  // 0000000047C8: 26444081
	v_mul_i32_i24_e32 v14, 0x108, v34                          // 0000000047CC: 0C1C44FF 00000108
	v_and_b32_e32 v34, 2, v32                                  // 0000000047D4: 26444082
	v_lshlrev_b32_e32 v34, 1, v34                              // 0000000047D8: 24444481
	v_add_u32_e32 v14, v34, v14                                // 0000000047DC: 681C1D22
	v_and_b32_e32 v34, 4, v32                                  // 0000000047E0: 26444084
	v_lshlrev_b32_e32 v34, 2, v34                              // 0000000047E4: 24444482
	v_add_u32_e32 v14, v34, v14                                // 0000000047E8: 681C1D22
	v_and_b32_e32 v34, 8, v32                                  // 0000000047EC: 26444088
	v_add_u32_e32 v14, v34, v14                                // 0000000047F0: 681C1D22
	v_lshrrev_b32_e32 v32, 4, v0                               // 0000000047F4: 20400084
	v_and_b32_e32 v34, 1, v32                                  // 0000000047F8: 26444081
	v_lshlrev_b32_e32 v34, 5, v34                              // 0000000047FC: 24444485
	v_add_u32_e32 v14, v34, v14                                // 000000004800: 681C1D22
	v_and_b32_e32 v33, 2, v32                                  // 000000004804: 26424082
	v_mul_i32_i24_e32 v34, 32, v33                             // 000000004808: 0C4442A0
	v_mul_i32_i24_e32 v33, 0x110, v33                          // 00000000480C: 0C4242FF 00000110
	v_add_u32_e32 v25, v33, v14                                // 000000004814: 68321D21
	v_add_u32_e32 v14, v34, v14                                // 000000004818: 681C1D22
	v_lshlrev_b32_e32 v14, 2, v14                              // 00000000481C: 241C1C82
	v_lshlrev_b32_e32 v25, 2, v25                              // 000000004820: 24323282
	s_and_b32 s60, 1, s46                                      // 000000004824: 863C2E81
	s_mul_i32 s60, s60, 0x200                                  // 000000004828: 923CFF3C 00000200
	v_add_u32_e32 v25, s60, v25                                // 000000004830: 6832323C
	v_lshrrev_b32_e32 v32, 4, v0                               // 000000004834: 20400084
	v_mul_i32_i24_e32 v23, 4, v32                              // 000000004838: 0C2E4084
	v_and_b32_e32 v33, 3, v0                                   // 00000000483C: 26420083
	v_add_u32_e32 v23, v33, v23                                // 000000004840: 682E2F21
	v_lshlrev_b32_e32 v23, 2, v23                              // 000000004844: 242E2E82
	v_lshrrev_b32_e32 v32, 4, v0                               // 000000004848: 20400084
	v_and_b32_e32 v33, 1, v32                                  // 00000000484C: 26424081
	v_mul_i32_i24_e32 v21, 0x100, v33                          // 000000004850: 0C2A42FF 00000100
	v_and_b32_e32 v33, 2, v32                                  // 000000004858: 26424082
	v_mul_i32_i24_e32 v33, 64, v33                             // 00000000485C: 0C4242C0
	v_add_u32_e32 v21, v33, v21                                // 000000004860: 682A2B21
	v_and_b32_e32 v32, 15, v0                                  // 000000004864: 2640008F
	v_mul_i32_i24_e32 v33, 2, v32                              // 000000004868: 0C424082
	v_add_u32_e32 v21, v33, v21                                // 00000000486C: 682A2B21
	s_mul_i32 s60, s46, 32                                     // 000000004870: 923CA02E
	v_add_u32_e32 v21, s60, v21                                // 000000004874: 682A2A3C
	v_lshlrev_b32_e32 v21, 2, v21                              // 000000004878: 242A2A82
	v_lshlrev_b32_e32 v22, 1, v0                               // 00000000487C: 242C0081
	s_mul_i32 s60, s46, 0x200                                  // 000000004880: 923CFF2E 00000200
	v_add_u32_e32 v22, s60, v22                                // 000000004888: 682C2C3C
	v_lshlrev_b32_e32 v22, 2, v22                              // 00000000488C: 242C2C82
	v_lshrrev_b32_e32 v32, 5, v0                               // 000000004890: 20400085
	v_mul_i32_i24_e32 v19, 64, v32                             // 000000004894: 0C2640C0
	v_and_b32_e32 v32, 31, v0                                  // 000000004898: 2640009F
	v_and_b32_e32 v32, 3, v32                                  // 00000000489C: 26404083
	v_and_b32_e32 v33, 1, v32                                  // 0000000048A0: 26424081
	v_mul_i32_i24_e32 v33, 4, v33                              // 0000000048A4: 0C424284
	v_add_u32_e32 v19, v33, v19                                // 0000000048A8: 68262721
	v_and_b32_e32 v33, 2, v32                                  // 0000000048AC: 26424082
	v_mul_i32_i24_e32 v33, 0x44, v33                           // 0000000048B0: 0C4242FF 00000044
	v_add_u32_e32 v19, v33, v19                                // 0000000048B8: 68262721
	v_and_b32_e32 v32, 31, v0                                  // 0000000048BC: 2640009F
	v_lshrrev_b32_e32 v32, 2, v32                              // 0000000048C0: 20404082
	v_lshrrev_b32_e32 v34, 2, v32                              // 0000000048C4: 20444082
	v_mul_i32_i24_e32 v33, 16, v34                             // 0000000048C8: 0C424490
	v_add_u32_e32 v19, v33, v19                                // 0000000048CC: 68262721
	v_and_b32_e32 v33, 2, v32                                  // 0000000048D0: 26424082
	v_lshlrev_b32_e32 v33, 4, v33                              // 0000000048D4: 24424284
	v_add_u32_e32 v19, v33, v19                                // 0000000048D8: 68262721
	v_and_b32_e32 v33, 1, v32                                  // 0000000048DC: 26424081
	v_xor_b32_e32 v33, v34, v33                                // 0000000048E0: 2A424322
	v_mul_i32_i24_e32 v33, 8, v33                              // 0000000048E4: 0C424288
	v_add_u32_e32 v19, v33, v19                                // 0000000048E8: 68262721
	s_lshr_b32 s60, s46, 1                                     // 0000000048EC: 8F3C812E
	s_mul_i32 s60, s60, 0x6c0                                  // 0000000048F0: 923CFF3C 000006C0
	v_add_u32_e32 v19, s60, v19                                // 0000000048F8: 6826263C
	v_lshlrev_b32_e32 v19, 2, v19                              // 0000000048FC: 24262682
	v_lshrrev_b32_e32 v32, 5, v0                               // 000000004900: 20400085
	v_mul_i32_i24_e32 v20, 32, v32                             // 000000004904: 0C2840A0
	v_and_b32_e32 v32, 31, v0                                  // 000000004908: 2640009F
	v_and_b32_e32 v32, 3, v32                                  // 00000000490C: 26404083
	v_and_b32_e32 v33, 1, v32                                  // 000000004910: 26424081
	v_mul_i32_i24_e32 v33, 4, v33                              // 000000004914: 0C424284
	v_add_u32_e32 v20, v33, v20                                // 000000004918: 68282921
	v_and_b32_e32 v33, 2, v32                                  // 00000000491C: 26424082
	v_lshrrev_b32_e32 v33, 1, v33                              // 000000004920: 20424281
	v_add_u32_e32 v20, v33, v20                                // 000000004924: 68282921
	v_and_b32_e32 v32, 31, v0                                  // 000000004928: 2640009F
	v_lshrrev_b32_e32 v32, 2, v32                              // 00000000492C: 20404082
	v_and_b32_e32 v34, 1, v32                                  // 000000004930: 26444081
	v_mul_i32_i24_e32 v33, 16, v34                             // 000000004934: 0C424490
	v_add_u32_e32 v20, v33, v20                                // 000000004938: 68282921
	v_and_b32_e32 v33, 2, v32                                  // 00000000493C: 26424082
	v_add_u32_e32 v20, v33, v20                                // 000000004940: 68282921
	v_lshrrev_b32_e32 v33, 2, v32                              // 000000004944: 20424082
	v_xor_b32_e32 v33, v34, v33                                // 000000004948: 2A424322
	v_mul_i32_i24_e32 v33, 8, v33                              // 00000000494C: 0C424288
	v_add_u32_e32 v20, v33, v20                                // 000000004950: 68282921
	s_and_b32 s60, 1, s46                                      // 000000004954: 863C2E81
	s_mul_i32 s60, s60, 64                                     // 000000004958: 923CC03C
	s_lshr_b32 s61, s46, 1                                     // 00000000495C: 8F3D812E
	s_mul_i32 s61, s61, 0x120                                  // 000000004960: 923DFF3D 00000120
	s_add_u32 s60, s60, s61                                    // 000000004968: 803C3D3C
	v_add_u32_e32 v20, s60, v20                                // 00000000496C: 6828283C
	v_lshlrev_b32_e32 v20, 2, v20                              // 000000004970: 24282882
	buffer_load_dword v178, v1, s[12:15], 0 idxen              // 000000004974: E0502000 8003B201
	buffer_load_dword v179, v2, s[12:15], 0 idxen              // 00000000497C: E0502000 8003B302
	s_mul_i32 s60, 4, s6                                       // 000000004984: 923C0684
	s_cmp_lt_i32 0, s73                                        // 000000004988: BF044980
	s_cselect_b32 s60, s60, 0                                  // 00000000498C: 853C803C
	v_add_u32_e32 v1, s60, v1                                  // 000000004990: 6802023C
	v_add_u32_e32 v2, s60, v2                                  // 000000004994: 6804043C
	buffer_load_dword v180, v1, s[12:15], 0 idxen              // 000000004998: E0502000 8003B401
	buffer_load_dword v181, v2, s[12:15], 0 idxen              // 0000000049A0: E0502000 8003B502
	s_mul_i32 s60, 4, s6                                       // 0000000049A8: 923C0684
	s_cmp_lt_i32 0, s73                                        // 0000000049AC: BF044980
	s_cselect_b32 s60, s60, 0                                  // 0000000049B0: 853C803C
	v_add_u32_e32 v1, s60, v1                                  // 0000000049B4: 6802023C
	v_add_u32_e32 v2, s60, v2                                  // 0000000049B8: 6804043C
	buffer_load_dword v182, v1, s[12:15], 0 idxen              // 0000000049BC: E0502000 8003B601
	buffer_load_dword v183, v2, s[12:15], 0 idxen              // 0000000049C4: E0502000 8003B702
	s_mul_i32 s60, 4, s6                                       // 0000000049CC: 923C0684
	s_cmp_lt_i32 0, s73                                        // 0000000049D0: BF044980
	s_cselect_b32 s60, s60, 0                                  // 0000000049D4: 853C803C
	v_add_u32_e32 v1, s60, v1                                  // 0000000049D8: 6802023C
	v_add_u32_e32 v2, s60, v2                                  // 0000000049DC: 6804043C
	buffer_load_dword v184, v1, s[12:15], 0 idxen              // 0000000049E0: E0502000 8003B801
	buffer_load_dword v185, v2, s[12:15], 0 idxen              // 0000000049E8: E0502000 8003B902
	s_mul_i32 s60, 4, s6                                       // 0000000049F0: 923C0684
	s_cmp_lt_i32 1, s73                                        // 0000000049F4: BF044981
	s_cselect_b32 s60, s60, 0                                  // 0000000049F8: 853C803C
	v_add_u32_e32 v1, s60, v1                                  // 0000000049FC: 6802023C
	v_add_u32_e32 v2, s60, v2                                  // 000000004A00: 6804043C
	buffer_load_dword v186, v1, s[12:15], 0 idxen              // 000000004A04: E0502000 8003BA01
	buffer_load_dword v187, v2, s[12:15], 0 idxen              // 000000004A0C: E0502000 8003BB02
	s_mul_i32 s60, 4, s6                                       // 000000004A14: 923C0684
	s_cmp_lt_i32 1, s73                                        // 000000004A18: BF044981
	s_cselect_b32 s60, s60, 0                                  // 000000004A1C: 853C803C
	v_add_u32_e32 v1, s60, v1                                  // 000000004A20: 6802023C
	v_add_u32_e32 v2, s60, v2                                  // 000000004A24: 6804043C
	buffer_load_dword v188, v1, s[12:15], 0 idxen              // 000000004A28: E0502000 8003BC01
	buffer_load_dword v189, v2, s[12:15], 0 idxen              // 000000004A30: E0502000 8003BD02
	s_mul_i32 s60, 4, s6                                       // 000000004A38: 923C0684
	s_cmp_lt_i32 1, s73                                        // 000000004A3C: BF044981
	s_cselect_b32 s60, s60, 0                                  // 000000004A40: 853C803C
	v_add_u32_e32 v1, s60, v1                                  // 000000004A44: 6802023C
	v_add_u32_e32 v2, s60, v2                                  // 000000004A48: 6804043C
	buffer_load_dword v190, v1, s[12:15], 0 idxen              // 000000004A4C: E0502000 8003BE01
	buffer_load_dword v191, v2, s[12:15], 0 idxen              // 000000004A54: E0502000 8003BF02
	s_mul_i32 s60, 4, s6                                       // 000000004A5C: 923C0684
	s_cmp_lt_i32 1, s73                                        // 000000004A60: BF044981
	s_cselect_b32 s60, s60, 0                                  // 000000004A64: 853C803C
	v_add_u32_e32 v1, s60, v1                                  // 000000004A68: 6802023C
	v_add_u32_e32 v2, s60, v2                                  // 000000004A6C: 6804043C
	buffer_load_dword v192, v1, s[12:15], 0 idxen              // 000000004A70: E0502000 8003C001
	buffer_load_dword v193, v2, s[12:15], 0 idxen              // 000000004A78: E0502000 8003C102
	s_mul_i32 s60, 4, s6                                       // 000000004A80: 923C0684
	s_cmp_lt_i32 2, s73                                        // 000000004A84: BF044982
	s_cselect_b32 s60, s60, 0                                  // 000000004A88: 853C803C
	v_add_u32_e32 v1, s60, v1                                  // 000000004A8C: 6802023C
	v_add_u32_e32 v2, s60, v2                                  // 000000004A90: 6804043C
	buffer_load_dword v194, v1, s[12:15], 0 idxen              // 000000004A94: E0502000 8003C201
	buffer_load_dword v195, v2, s[12:15], 0 idxen              // 000000004A9C: E0502000 8003C302
	s_mul_i32 s60, 4, s6                                       // 000000004AA4: 923C0684
	s_cmp_lt_i32 2, s73                                        // 000000004AA8: BF044982
	s_cselect_b32 s60, s60, 0                                  // 000000004AAC: 853C803C
	v_add_u32_e32 v1, s60, v1                                  // 000000004AB0: 6802023C
	v_add_u32_e32 v2, s60, v2                                  // 000000004AB4: 6804043C
	buffer_load_dword v196, v1, s[12:15], 0 idxen              // 000000004AB8: E0502000 8003C401
	buffer_load_dword v197, v2, s[12:15], 0 idxen              // 000000004AC0: E0502000 8003C502
	s_mul_i32 s60, 4, s6                                       // 000000004AC8: 923C0684
	s_cmp_lt_i32 2, s73                                        // 000000004ACC: BF044982
	s_cselect_b32 s60, s60, 0                                  // 000000004AD0: 853C803C
	v_add_u32_e32 v1, s60, v1                                  // 000000004AD4: 6802023C
	v_add_u32_e32 v2, s60, v2                                  // 000000004AD8: 6804043C
	buffer_load_dword v198, v1, s[12:15], 0 idxen              // 000000004ADC: E0502000 8003C601
	buffer_load_dword v199, v2, s[12:15], 0 idxen              // 000000004AE4: E0502000 8003C702
	s_mul_i32 s60, 4, s6                                       // 000000004AEC: 923C0684
	s_cmp_lt_i32 2, s73                                        // 000000004AF0: BF044982
	s_cselect_b32 s60, s60, 0                                  // 000000004AF4: 853C803C
	v_add_u32_e32 v1, s60, v1                                  // 000000004AF8: 6802023C
	v_add_u32_e32 v2, s60, v2                                  // 000000004AFC: 6804043C
	buffer_load_dword v200, v1, s[12:15], 0 idxen              // 000000004B00: E0502000 8003C801
	buffer_load_dword v201, v2, s[12:15], 0 idxen              // 000000004B08: E0502000 8003C902
	s_mul_i32 s60, 4, s6                                       // 000000004B10: 923C0684
	s_cmp_lt_i32 3, s73                                        // 000000004B14: BF044983
	s_cselect_b32 s60, s60, 0                                  // 000000004B18: 853C803C
	v_add_u32_e32 v1, s60, v1                                  // 000000004B1C: 6802023C
	v_add_u32_e32 v2, s60, v2                                  // 000000004B20: 6804043C
	s_waitcnt vmcnt(16) lgkmcnt(0)                             // 000000004B24: BF8C4070
	s_barrier                                                  // 000000004B28: BF8A0000
	s_cmp_lt_i32 0, s73                                        // 000000004B2C: BF044980
	s_cbranch_scc1 label_02D5                                  // 000000004B30: BF850008
	v_mov_b32_e32 v178, 0                                      // 000000004B34: 7F640280
	v_mov_b32_e32 v179, 0                                      // 000000004B38: 7F660280
	v_mov_b32_e32 v180, 0                                      // 000000004B3C: 7F680280
	v_mov_b32_e32 v181, 0                                      // 000000004B40: 7F6A0280
	v_mov_b32_e32 v182, 0                                      // 000000004B44: 7F6C0280
	v_mov_b32_e32 v183, 0                                      // 000000004B48: 7F6E0280
	v_mov_b32_e32 v184, 0                                      // 000000004B4C: 7F700280
	v_mov_b32_e32 v185, 0                                      // 000000004B50: 7F720280

0000000000004b54 <label_02D5>:
	v_perm_b32 v202, v179, v178, s63                           // 000000004B54: D1ED00CA 00FF65B3
	v_perm_b32 v203, v179, v178, s64                           // 000000004B5C: D1ED00CB 010365B3
	v_perm_b32 v204, v181, v180, s63                           // 000000004B64: D1ED00CC 00FF69B5
	v_perm_b32 v205, v181, v180, s64                           // 000000004B6C: D1ED00CD 010369B5
	v_perm_b32 v206, v183, v182, s63                           // 000000004B74: D1ED00CE 00FF6DB7
	v_perm_b32 v207, v183, v182, s64                           // 000000004B7C: D1ED00CF 01036DB7
	v_perm_b32 v208, v185, v184, s63                           // 000000004B84: D1ED00D0 00FF71B9
	v_perm_b32 v209, v185, v184, s64                           // 000000004B8C: D1ED00D1 010371B9
	ds_write_b32 v15, v202 offset:8704                         // 000000004B94: D81A2200 0000CA0F
	ds_write_b32 v15, v203 offset:9760                         // 000000004B9C: D81A2620 0000CB0F
	ds_write_b32 v15, v204 offset:10880                        // 000000004BA4: D81A2A80 0000CC0F
	ds_write_b32 v15, v205 offset:11936                        // 000000004BAC: D81A2EA0 0000CD0F
	ds_write_b32 v15, v206 offset:13056                        // 000000004BB4: D81A3300 0000CE0F
	ds_write_b32 v15, v207 offset:14112                        // 000000004BBC: D81A3720 0000CF0F
	ds_write_b32 v15, v208 offset:15232                        // 000000004BC4: D81A3B80 0000D00F
	ds_write_b32 v15, v209 offset:16288                        // 000000004BCC: D81A3FA0 0000D10F
	ds_write_b32 v13, v178                                     // 000000004BD4: D81A0000 0000B20D
	ds_write_b32 v13, v179 offset:1056                         // 000000004BDC: D81A0420 0000B30D
	ds_write_b32 v13, v180 offset:2176                         // 000000004BE4: D81A0880 0000B40D
	ds_write_b32 v13, v181 offset:3232                         // 000000004BEC: D81A0CA0 0000B50D
	ds_write_b32 v13, v182 offset:4352                         // 000000004BF4: D81A1100 0000B60D
	ds_write_b32 v13, v183 offset:5408                         // 000000004BFC: D81A1520 0000B70D
	ds_write_b32 v13, v184 offset:6528                         // 000000004C04: D81A1980 0000B80D
	ds_write_b32 v13, v185 offset:7584                         // 000000004C0C: D81A1DA0 0000B90D
	buffer_load_dword v178, v231, s[16:19], 0 idxen            // 000000004C14: E0502000 8004B2E7
	buffer_load_dword v179, v232, s[16:19], 0 idxen            // 000000004C1C: E0502000 8004B3E8
	s_mul_i32 s60, 4, s7                                       // 000000004C24: 923C0784
	s_cmp_lt_i32 0, s73                                        // 000000004C28: BF044980
	s_cselect_b32 s60, s60, 0                                  // 000000004C2C: 853C803C
	v_add_u32_e32 v231, s60, v231                              // 000000004C30: 69CFCE3C
	v_add_u32_e32 v232, s60, v232                              // 000000004C34: 69D1D03C
	buffer_load_dword v180, v231, s[16:19], 0 idxen            // 000000004C38: E0502000 8004B4E7
	buffer_load_dword v181, v232, s[16:19], 0 idxen            // 000000004C40: E0502000 8004B5E8
	s_mul_i32 s60, 4, s7                                       // 000000004C48: 923C0784
	s_cmp_lt_i32 0, s73                                        // 000000004C4C: BF044980
	s_cselect_b32 s60, s60, 0                                  // 000000004C50: 853C803C
	v_add_u32_e32 v231, s60, v231                              // 000000004C54: 69CFCE3C
	v_add_u32_e32 v232, s60, v232                              // 000000004C58: 69D1D03C
	buffer_load_dword v182, v231, s[16:19], 0 idxen            // 000000004C5C: E0502000 8004B6E7
	buffer_load_dword v183, v232, s[16:19], 0 idxen            // 000000004C64: E0502000 8004B7E8
	s_mul_i32 s60, 4, s7                                       // 000000004C6C: 923C0784
	s_cmp_lt_i32 0, s73                                        // 000000004C70: BF044980
	s_cselect_b32 s60, s60, 0                                  // 000000004C74: 853C803C
	v_add_u32_e32 v231, s60, v231                              // 000000004C78: 69CFCE3C
	v_add_u32_e32 v232, s60, v232                              // 000000004C7C: 69D1D03C
	buffer_load_dword v184, v231, s[16:19], 0 idxen            // 000000004C80: E0502000 8004B8E7
	buffer_load_dword v185, v232, s[16:19], 0 idxen            // 000000004C88: E0502000 8004B9E8
	s_mul_i32 s60, 4, s7                                       // 000000004C90: 923C0784
	s_cmp_lt_i32 1, s73                                        // 000000004C94: BF044981
	s_cselect_b32 s60, s60, 0                                  // 000000004C98: 853C803C
	v_add_u32_e32 v231, s60, v231                              // 000000004C9C: 69CFCE3C
	v_add_u32_e32 v232, s60, v232                              // 000000004CA0: 69D1D03C
	s_waitcnt lgkmcnt(0)                                       // 000000004CA4: BF8CC07F
	s_barrier                                                  // 000000004CA8: BF8A0000
	ds_read_b128 a[24:27], v25 offset:8704                     // 000000004CAC: DBFE2200 18000019
	ds_read_b128 a[28:31], v25 offset:8960                     // 000000004CB4: DBFE2300 1C000019
	ds_read_b128 a[32:35], v25 offset:13056                    // 000000004CBC: DBFE3300 20000019
	ds_read_b128 a[36:39], v25 offset:13312                    // 000000004CC4: DBFE3400 24000019
	ds_read_b128 a[0:3], v24                                   // 000000004CCC: DBFE0000 00000018
	ds_read_b128 a[4:7], v24 offset:512                        // 000000004CD4: DBFE0200 04000018
	s_waitcnt vmcnt(16) lgkmcnt(0)                             // 000000004CDC: BF8C4070
	s_barrier                                                  // 000000004CE0: BF8A0000
	s_cmp_lt_i32 1, s73                                        // 000000004CE4: BF044981
	s_cbranch_scc1 label_0343                                  // 000000004CE8: BF850008
	v_mov_b32_e32 v186, 0                                      // 000000004CEC: 7F740280
	v_mov_b32_e32 v187, 0                                      // 000000004CF0: 7F760280
	v_mov_b32_e32 v188, 0                                      // 000000004CF4: 7F780280
	v_mov_b32_e32 v189, 0                                      // 000000004CF8: 7F7A0280
	v_mov_b32_e32 v190, 0                                      // 000000004CFC: 7F7C0280
	v_mov_b32_e32 v191, 0                                      // 000000004D00: 7F7E0280
	v_mov_b32_e32 v192, 0                                      // 000000004D04: 7F800280
	v_mov_b32_e32 v193, 0                                      // 000000004D08: 7F820280

0000000000004d0c <label_0343>:
	v_perm_b32 v202, v187, v186, s63                           // 000000004D0C: D1ED00CA 00FF75BB
	v_perm_b32 v203, v187, v186, s64                           // 000000004D14: D1ED00CB 010375BB
	v_perm_b32 v204, v189, v188, s63                           // 000000004D1C: D1ED00CC 00FF79BD
	v_perm_b32 v205, v189, v188, s64                           // 000000004D24: D1ED00CD 010379BD
	v_perm_b32 v206, v191, v190, s63                           // 000000004D2C: D1ED00CE 00FF7DBF
	v_perm_b32 v207, v191, v190, s64                           // 000000004D34: D1ED00CF 01037DBF
	v_perm_b32 v208, v193, v192, s63                           // 000000004D3C: D1ED00D0 00FF81C1
	v_perm_b32 v209, v193, v192, s64                           // 000000004D44: D1ED00D1 010381C1
	ds_write_b32 v15, v202 offset:8704                         // 000000004D4C: D81A2200 0000CA0F
	ds_write_b32 v15, v203 offset:9760                         // 000000004D54: D81A2620 0000CB0F
	ds_write_b32 v15, v204 offset:10880                        // 000000004D5C: D81A2A80 0000CC0F
	ds_write_b32 v15, v205 offset:11936                        // 000000004D64: D81A2EA0 0000CD0F
	ds_write_b32 v15, v206 offset:13056                        // 000000004D6C: D81A3300 0000CE0F
	ds_write_b32 v15, v207 offset:14112                        // 000000004D74: D81A3720 0000CF0F
	ds_write_b32 v15, v208 offset:15232                        // 000000004D7C: D81A3B80 0000D00F
	ds_write_b32 v15, v209 offset:16288                        // 000000004D84: D81A3FA0 0000D10F
	ds_write_b32 v13, v186                                     // 000000004D8C: D81A0000 0000BA0D
	ds_write_b32 v13, v187 offset:1056                         // 000000004D94: D81A0420 0000BB0D
	ds_write_b32 v13, v188 offset:2176                         // 000000004D9C: D81A0880 0000BC0D
	ds_write_b32 v13, v189 offset:3232                         // 000000004DA4: D81A0CA0 0000BD0D
	ds_write_b32 v13, v190 offset:4352                         // 000000004DAC: D81A1100 0000BE0D
	ds_write_b32 v13, v191 offset:5408                         // 000000004DB4: D81A1520 0000BF0D
	ds_write_b32 v13, v192 offset:6528                         // 000000004DBC: D81A1980 0000C00D
	ds_write_b32 v13, v193 offset:7584                         // 000000004DC4: D81A1DA0 0000C10D
	buffer_load_dword v186, v231, s[16:19], 0 idxen            // 000000004DCC: E0502000 8004BAE7
	buffer_load_dword v187, v232, s[16:19], 0 idxen            // 000000004DD4: E0502000 8004BBE8
	s_mul_i32 s60, 4, s7                                       // 000000004DDC: 923C0784
	s_cmp_lt_i32 1, s73                                        // 000000004DE0: BF044981
	s_cselect_b32 s60, s60, 0                                  // 000000004DE4: 853C803C
	v_add_u32_e32 v231, s60, v231                              // 000000004DE8: 69CFCE3C
	v_add_u32_e32 v232, s60, v232                              // 000000004DEC: 69D1D03C
	buffer_load_dword v188, v231, s[16:19], 0 idxen            // 000000004DF0: E0502000 8004BCE7
	buffer_load_dword v189, v232, s[16:19], 0 idxen            // 000000004DF8: E0502000 8004BDE8
	s_mul_i32 s60, 4, s7                                       // 000000004E00: 923C0784
	s_cmp_lt_i32 1, s73                                        // 000000004E04: BF044981
	s_cselect_b32 s60, s60, 0                                  // 000000004E08: 853C803C
	v_add_u32_e32 v231, s60, v231                              // 000000004E0C: 69CFCE3C
	v_add_u32_e32 v232, s60, v232                              // 000000004E10: 69D1D03C
	buffer_load_dword v190, v231, s[16:19], 0 idxen            // 000000004E14: E0502000 8004BEE7
	buffer_load_dword v191, v232, s[16:19], 0 idxen            // 000000004E1C: E0502000 8004BFE8
	s_mul_i32 s60, 4, s7                                       // 000000004E24: 923C0784
	s_cmp_lt_i32 1, s73                                        // 000000004E28: BF044981
	s_cselect_b32 s60, s60, 0                                  // 000000004E2C: 853C803C
	v_add_u32_e32 v231, s60, v231                              // 000000004E30: 69CFCE3C
	v_add_u32_e32 v232, s60, v232                              // 000000004E34: 69D1D03C
	buffer_load_dword v192, v231, s[16:19], 0 idxen            // 000000004E38: E0502000 8004C0E7
	buffer_load_dword v193, v232, s[16:19], 0 idxen            // 000000004E40: E0502000 8004C1E8
	s_mul_i32 s60, 4, s7                                       // 000000004E48: 923C0784
	s_cmp_lt_i32 2, s73                                        // 000000004E4C: BF044982
	s_cselect_b32 s60, s60, 0                                  // 000000004E50: 853C803C
	v_add_u32_e32 v231, s60, v231                              // 000000004E54: 69CFCE3C
	v_add_u32_e32 v232, s60, v232                              // 000000004E58: 69D1D03C
	s_waitcnt lgkmcnt(0)                                       // 000000004E5C: BF8CC07F
	s_barrier                                                  // 000000004E60: BF8A0000
	ds_read_b128 a[40:43], v25 offset:8704                     // 000000004E64: DBFE2200 28000019
	ds_read_b128 a[44:47], v25 offset:8960                     // 000000004E6C: DBFE2300 2C000019
	ds_read_b128 a[48:51], v25 offset:13056                    // 000000004E74: DBFE3300 30000019
	ds_read_b128 a[52:55], v25 offset:13312                    // 000000004E7C: DBFE3400 34000019
	ds_read_b128 a[8:11], v24                                  // 000000004E84: DBFE0000 08000018
	ds_read_b128 a[12:15], v24 offset:512                      // 000000004E8C: DBFE0200 0C000018
	s_waitcnt vmcnt(16) lgkmcnt(0)                             // 000000004E94: BF8C4070
	s_barrier                                                  // 000000004E98: BF8A0000
	s_cmp_lt_i32 2, s73                                        // 000000004E9C: BF044982
	s_cbranch_scc1 label_03B1                                  // 000000004EA0: BF850008
	v_mov_b32_e32 v194, 0                                      // 000000004EA4: 7F840280
	v_mov_b32_e32 v195, 0                                      // 000000004EA8: 7F860280
	v_mov_b32_e32 v196, 0                                      // 000000004EAC: 7F880280
	v_mov_b32_e32 v197, 0                                      // 000000004EB0: 7F8A0280
	v_mov_b32_e32 v198, 0                                      // 000000004EB4: 7F8C0280
	v_mov_b32_e32 v199, 0                                      // 000000004EB8: 7F8E0280
	v_mov_b32_e32 v200, 0                                      // 000000004EBC: 7F900280
	v_mov_b32_e32 v201, 0                                      // 000000004EC0: 7F920280

0000000000004ec4 <label_03B1>:
	v_perm_b32 v202, v195, v194, s63                           // 000000004EC4: D1ED00CA 00FF85C3
	v_perm_b32 v203, v195, v194, s64                           // 000000004ECC: D1ED00CB 010385C3
	v_perm_b32 v204, v197, v196, s63                           // 000000004ED4: D1ED00CC 00FF89C5
	v_perm_b32 v205, v197, v196, s64                           // 000000004EDC: D1ED00CD 010389C5
	v_perm_b32 v206, v199, v198, s63                           // 000000004EE4: D1ED00CE 00FF8DC7
	v_perm_b32 v207, v199, v198, s64                           // 000000004EEC: D1ED00CF 01038DC7
	v_perm_b32 v208, v201, v200, s63                           // 000000004EF4: D1ED00D0 00FF91C9
	v_perm_b32 v209, v201, v200, s64                           // 000000004EFC: D1ED00D1 010391C9
	ds_write_b32 v15, v202 offset:8704                         // 000000004F04: D81A2200 0000CA0F
	ds_write_b32 v15, v203 offset:9760                         // 000000004F0C: D81A2620 0000CB0F
	ds_write_b32 v15, v204 offset:10880                        // 000000004F14: D81A2A80 0000CC0F
	ds_write_b32 v15, v205 offset:11936                        // 000000004F1C: D81A2EA0 0000CD0F
	ds_write_b32 v15, v206 offset:13056                        // 000000004F24: D81A3300 0000CE0F
	ds_write_b32 v15, v207 offset:14112                        // 000000004F2C: D81A3720 0000CF0F
	ds_write_b32 v15, v208 offset:15232                        // 000000004F34: D81A3B80 0000D00F
	ds_write_b32 v15, v209 offset:16288                        // 000000004F3C: D81A3FA0 0000D10F
	ds_write_b32 v13, v194                                     // 000000004F44: D81A0000 0000C20D
	ds_write_b32 v13, v195 offset:1056                         // 000000004F4C: D81A0420 0000C30D
	ds_write_b32 v13, v196 offset:2176                         // 000000004F54: D81A0880 0000C40D
	ds_write_b32 v13, v197 offset:3232                         // 000000004F5C: D81A0CA0 0000C50D
	ds_write_b32 v13, v198 offset:4352                         // 000000004F64: D81A1100 0000C60D
	ds_write_b32 v13, v199 offset:5408                         // 000000004F6C: D81A1520 0000C70D
	ds_write_b32 v13, v200 offset:6528                         // 000000004F74: D81A1980 0000C80D
	ds_write_b32 v13, v201 offset:7584                         // 000000004F7C: D81A1DA0 0000C90D
	buffer_load_dword v194, v231, s[16:19], 0 idxen            // 000000004F84: E0502000 8004C2E7
	buffer_load_dword v195, v232, s[16:19], 0 idxen            // 000000004F8C: E0502000 8004C3E8
	s_mul_i32 s60, 4, s7                                       // 000000004F94: 923C0784
	s_cmp_lt_i32 2, s73                                        // 000000004F98: BF044982
	s_cselect_b32 s60, s60, 0                                  // 000000004F9C: 853C803C
	v_add_u32_e32 v231, s60, v231                              // 000000004FA0: 69CFCE3C
	v_add_u32_e32 v232, s60, v232                              // 000000004FA4: 69D1D03C
	buffer_load_dword v196, v231, s[16:19], 0 idxen            // 000000004FA8: E0502000 8004C4E7
	buffer_load_dword v197, v232, s[16:19], 0 idxen            // 000000004FB0: E0502000 8004C5E8
	s_mul_i32 s60, 4, s7                                       // 000000004FB8: 923C0784
	s_cmp_lt_i32 2, s73                                        // 000000004FBC: BF044982
	s_cselect_b32 s60, s60, 0                                  // 000000004FC0: 853C803C
	v_add_u32_e32 v231, s60, v231                              // 000000004FC4: 69CFCE3C
	v_add_u32_e32 v232, s60, v232                              // 000000004FC8: 69D1D03C
	buffer_load_dword v198, v231, s[16:19], 0 idxen            // 000000004FCC: E0502000 8004C6E7
	buffer_load_dword v199, v232, s[16:19], 0 idxen            // 000000004FD4: E0502000 8004C7E8
	s_mul_i32 s60, 4, s7                                       // 000000004FDC: 923C0784
	s_cmp_lt_i32 2, s73                                        // 000000004FE0: BF044982
	s_cselect_b32 s60, s60, 0                                  // 000000004FE4: 853C803C
	v_add_u32_e32 v231, s60, v231                              // 000000004FE8: 69CFCE3C
	v_add_u32_e32 v232, s60, v232                              // 000000004FEC: 69D1D03C
	buffer_load_dword v200, v231, s[16:19], 0 idxen            // 000000004FF0: E0502000 8004C8E7
	buffer_load_dword v201, v232, s[16:19], 0 idxen            // 000000004FF8: E0502000 8004C9E8
	s_mul_i32 s60, 4, s7                                       // 000000005000: 923C0784
	s_cmp_lt_i32 3, s73                                        // 000000005004: BF044983
	s_cselect_b32 s60, s60, 0                                  // 000000005008: 853C803C
	v_add_u32_e32 v231, s60, v231                              // 00000000500C: 69CFCE3C
	v_add_u32_e32 v232, s60, v232                              // 000000005010: 69D1D03C
	s_waitcnt lgkmcnt(0)                                       // 000000005014: BF8CC07F
	s_barrier                                                  // 000000005018: BF8A0000
	ds_read_b128 a[56:59], v25 offset:8704                     // 00000000501C: DBFE2200 38000019
	ds_read_b128 a[60:63], v25 offset:8960                     // 000000005024: DBFE2300 3C000019
	ds_read_b128 a[64:67], v25 offset:13056                    // 00000000502C: DBFE3300 40000019
	ds_read_b128 a[68:71], v25 offset:13312                    // 000000005034: DBFE3400 44000019
	ds_read_b128 a[16:19], v24                                 // 00000000503C: DBFE0000 10000018
	ds_read_b128 a[20:23], v24 offset:512                      // 000000005044: DBFE0200 14000018
	s_waitcnt vmcnt(16) lgkmcnt(0)                             // 00000000504C: BF8C4070
	s_barrier                                                  // 000000005050: BF8A0000
	s_cmp_lt_i32 0, s73                                        // 000000005054: BF044980
	s_cbranch_scc1 label_041F                                  // 000000005058: BF850008
	v_mov_b32_e32 v178, 0                                      // 00000000505C: 7F640280
	v_mov_b32_e32 v179, 0                                      // 000000005060: 7F660280
	v_mov_b32_e32 v180, 0                                      // 000000005064: 7F680280
	v_mov_b32_e32 v181, 0                                      // 000000005068: 7F6A0280
	v_mov_b32_e32 v182, 0                                      // 00000000506C: 7F6C0280
	v_mov_b32_e32 v183, 0                                      // 000000005070: 7F6E0280
	v_mov_b32_e32 v184, 0                                      // 000000005074: 7F700280
	v_mov_b32_e32 v185, 0                                      // 000000005078: 7F720280

000000000000507c <label_041F>:
	ds_write_b32 v13, v178                                     // 00000000507C: D81A0000 0000B20D
	ds_write_b32 v13, v179 offset:1056                         // 000000005084: D81A0420 0000B30D
	ds_write_b32 v13, v180 offset:2176                         // 00000000508C: D81A0880 0000B40D
	ds_write_b32 v13, v181 offset:3232                         // 000000005094: D81A0CA0 0000B50D
	ds_write_b32 v13, v182 offset:4352                         // 00000000509C: D81A1100 0000B60D
	ds_write_b32 v13, v183 offset:5408                         // 0000000050A4: D81A1520 0000B70D
	ds_write_b32 v13, v184 offset:6528                         // 0000000050AC: D81A1980 0000B80D
	ds_write_b32 v13, v185 offset:7584                         // 0000000050B4: D81A1DA0 0000B90D
	s_mov_b32 s71, s5                                          // 0000000050BC: BEC70005
	v_lshrrev_b32_e32 v32, 4, v0                               // 0000000050C0: 20400084
	v_and_b32_e32 v33, 1, v32                                  // 0000000050C4: 26424081
	v_lshlrev_b32_e32 v33, 1, v33                              // 0000000050C8: 24424281
	v_mul_i32_i24_e32 v33, s71, v33                            // 0000000050CC: 0C424247
	v_and_b32_e32 v34, 2, v32                                  // 0000000050D0: 26444082
	v_lshlrev_b32_e32 v34, 5, v34                              // 0000000050D4: 24444485
	v_add_u32_e32 v33, v34, v33                                // 0000000050D8: 68424322
	v_and_b32_e32 v32, 15, v0                                  // 0000000050DC: 2640008F
	v_lshlrev_b32_e32 v32, 2, v32                              // 0000000050E0: 24404082
	v_add_u32_e32 v1, v32, v33                                 // 0000000050E4: 68024320
	s_mul_i32 s60, s46, s71                                    // 0000000050E8: 923C472E
	s_mul_i32 s60, s60, 4                                      // 0000000050EC: 923C843C
	v_add_u32_e32 v1, s60, v1                                  // 0000000050F0: 6802023C
	v_add_u32_e32 v2, s71, v1                                  // 0000000050F4: 68040247
	s_mul_i32 s60, 16, s71                                     // 0000000050F8: 923C4790
	v_add_u32_e32 v3, s60, v1                                  // 0000000050FC: 6806023C
	v_add_u32_e32 v4, s60, v2                                  // 000000005100: 6808043C
	s_mov_b32 s71, s51                                         // 000000005104: BEC70033
	v_lshrrev_b32_e32 v32, 4, v0                               // 000000005108: 20400084
	v_and_b32_e32 v33, 1, v32                                  // 00000000510C: 26424081
	v_lshlrev_b32_e32 v33, 1, v33                              // 000000005110: 24424281
	v_mul_i32_i24_e32 v33, s71, v33                            // 000000005114: 0C424247
	v_and_b32_e32 v34, 2, v32                                  // 000000005118: 26444082
	v_lshlrev_b32_e32 v34, 5, v34                              // 00000000511C: 24444485
	v_add_u32_e32 v33, v34, v33                                // 000000005120: 68424322
	v_and_b32_e32 v32, 15, v0                                  // 000000005124: 2640008F
	v_lshlrev_b32_e32 v32, 2, v32                              // 000000005128: 24404082
	v_add_u32_e32 v231, v32, v33                               // 00000000512C: 69CE4320
	s_mul_i32 s60, s46, s71                                    // 000000005130: 923C472E
	s_mul_i32 s60, s60, 4                                      // 000000005134: 923C843C
	v_add_u32_e32 v231, s60, v231                              // 000000005138: 69CFCE3C
	v_add_u32_e32 v232, s71, v231                              // 00000000513C: 69D1CE47
	s_mul_i32 s60, 16, s71                                     // 000000005140: 923C4790
	v_add_u32_e32 v233, s60, v231                              // 000000005144: 69D3CE3C
	v_add_u32_e32 v234, s60, v232                              // 000000005148: 69D5D03C
	v_lshrrev_b32_e32 v1, 2, v1                                // 00000000514C: 20020282
	v_lshrrev_b32_e32 v2, 2, v2                                // 000000005150: 20040482
	v_lshrrev_b32_e32 v3, 2, v3                                // 000000005154: 20060682
	;; [unrolled: 1-line block ×3, first 2 shown]
	v_lshrrev_b32_e32 v231, 2, v231                            // 00000000515C: 21CFCE82
	v_lshrrev_b32_e32 v232, 2, v232                            // 000000005160: 21D1D082
	v_lshrrev_b32_e32 v233, 2, v233                            // 000000005164: 21D3D282
	v_lshrrev_b32_e32 v234, 2, v234                            // 000000005168: 21D5D482
	buffer_load_dword v36, v1, s[8:11], 0 idxen                // 00000000516C: E0502000 80022401
	buffer_load_dword v37, v2, s[8:11], 0 idxen                // 000000005174: E0502000 80022502
	buffer_load_dword v38, v3, s[8:11], 0 idxen                // 00000000517C: E0502000 80022603
	buffer_load_dword v39, v4, s[8:11], 0 idxen                // 000000005184: E0502000 80022704
	buffer_load_dword v44, v231, s[20:23], 0 idxen             // 00000000518C: E0502000 80052CE7
	buffer_load_dword v45, v232, s[20:23], 0 idxen             // 000000005194: E0502000 80052DE8
	buffer_load_dword v46, v233, s[20:23], 0 idxen             // 00000000519C: E0502000 80052EE9
	buffer_load_dword v47, v234, s[20:23], 0 idxen             // 0000000051A4: E0502000 80052FEA
	s_waitcnt lgkmcnt(0)                                       // 0000000051AC: BF8CC07F
	s_barrier                                                  // 0000000051B0: BF8A0000
	ds_read_b128 a[72:75], v24                                 // 0000000051B4: DBFE0000 48000018
	ds_read_b128 a[76:79], v24 offset:512                      // 0000000051BC: DBFE0200 4C000018
	v_add_u32_e32 v1, s68, v1                                  // 0000000051C4: 68020244
	v_add_u32_e32 v2, s68, v2                                  // 0000000051C8: 68040444
	v_add_u32_e32 v3, s68, v3                                  // 0000000051CC: 68060644
	v_add_u32_e32 v4, s68, v4                                  // 0000000051D0: 68080844
	v_add_u32_e32 v231, s95, v231                              // 0000000051D4: 69CFCE5F
	v_add_u32_e32 v232, s95, v232                              // 0000000051D8: 69D1D05F
	v_add_u32_e32 v233, s95, v233                              // 0000000051DC: 69D3D25F
	v_add_u32_e32 v234, s95, v234                              // 0000000051E0: 69D5D45F
	s_waitcnt vmcnt(16) lgkmcnt(0)                             // 0000000051E4: BF8C4070
	s_barrier                                                  // 0000000051E8: BF8A0000
	s_cmp_lt_i32 1, s73                                        // 0000000051EC: BF044981
	s_cbranch_scc1 label_0485                                  // 0000000051F0: BF850008
	v_mov_b32_e32 v186, 0                                      // 0000000051F4: 7F740280
	v_mov_b32_e32 v187, 0                                      // 0000000051F8: 7F760280
	v_mov_b32_e32 v188, 0                                      // 0000000051FC: 7F780280
	v_mov_b32_e32 v189, 0                                      // 000000005200: 7F7A0280
	v_mov_b32_e32 v190, 0                                      // 000000005204: 7F7C0280
	v_mov_b32_e32 v191, 0                                      // 000000005208: 7F7E0280
	v_mov_b32_e32 v192, 0                                      // 00000000520C: 7F800280
	v_mov_b32_e32 v193, 0                                      // 000000005210: 7F820280

0000000000005214 <label_0485>:
	ds_write_b32 v13, v186                                     // 000000005214: D81A0000 0000BA0D
	ds_write_b32 v13, v187 offset:1056                         // 00000000521C: D81A0420 0000BB0D
	ds_write_b32 v13, v188 offset:2176                         // 000000005224: D81A0880 0000BC0D
	ds_write_b32 v13, v189 offset:3232                         // 00000000522C: D81A0CA0 0000BD0D
	ds_write_b32 v13, v190 offset:4352                         // 000000005234: D81A1100 0000BE0D
	ds_write_b32 v13, v191 offset:5408                         // 00000000523C: D81A1520 0000BF0D
	ds_write_b32 v13, v192 offset:6528                         // 000000005244: D81A1980 0000C00D
	ds_write_b32 v13, v193 offset:7584                         // 00000000524C: D81A1DA0 0000C10D
	buffer_load_dword v40, v1, s[8:11], 0 idxen                // 000000005254: E0502000 80022801
	buffer_load_dword v41, v2, s[8:11], 0 idxen                // 00000000525C: E0502000 80022902
	buffer_load_dword v42, v3, s[8:11], 0 idxen                // 000000005264: E0502000 80022A03
	buffer_load_dword v43, v4, s[8:11], 0 idxen                // 00000000526C: E0502000 80022B04
	buffer_load_dword v48, v231, s[20:23], 0 idxen             // 000000005274: E0502000 800530E7
	buffer_load_dword v49, v232, s[20:23], 0 idxen             // 00000000527C: E0502000 800531E8
	buffer_load_dword v50, v233, s[20:23], 0 idxen             // 000000005284: E0502000 800532E9
	buffer_load_dword v51, v234, s[20:23], 0 idxen             // 00000000528C: E0502000 800533EA
	s_waitcnt lgkmcnt(0)                                       // 000000005294: BF8CC07F
	s_barrier                                                  // 000000005298: BF8A0000
	ds_read_b128 a[80:83], v24                                 // 00000000529C: DBFE0000 50000018
	ds_read_b128 a[84:87], v24 offset:512                      // 0000000052A4: DBFE0200 54000018
	s_add_u32 s60, 64, s59                                     // 0000000052AC: 803C3BC0
	s_cmp_lt_u32 s60, s58                                      // 0000000052B0: BF0A3A3C
	s_cselect_b32 s68, s68, 0                                  // 0000000052B4: 85448044
	s_cselect_b32 s95, s95, 0                                  // 0000000052B8: 855F805F
	v_add_u32_e32 v1, s68, v1                                  // 0000000052BC: 68020244
	v_add_u32_e32 v2, s68, v2                                  // 0000000052C0: 68040444
	v_add_u32_e32 v3, s68, v3                                  // 0000000052C4: 68060644
	v_add_u32_e32 v4, s68, v4                                  // 0000000052C8: 68080844
	v_add_u32_e32 v231, s95, v231                              // 0000000052CC: 69CFCE5F
	v_add_u32_e32 v232, s95, v232                              // 0000000052D0: 69D1D05F
	v_add_u32_e32 v233, s95, v233                              // 0000000052D4: 69D3D25F
	v_add_u32_e32 v234, s95, v234                              // 0000000052D8: 69D5D45F
	s_waitcnt vmcnt(16) lgkmcnt(0)                             // 0000000052DC: BF8C4070
	s_barrier                                                  // 0000000052E0: BF8A0000
	s_cmp_lt_i32 2, s73                                        // 0000000052E4: BF044982
	s_cbranch_scc1 label_04C3                                  // 0000000052E8: BF850008
	v_mov_b32_e32 v194, 0                                      // 0000000052EC: 7F840280
	v_mov_b32_e32 v195, 0                                      // 0000000052F0: 7F860280
	v_mov_b32_e32 v196, 0                                      // 0000000052F4: 7F880280
	v_mov_b32_e32 v197, 0                                      // 0000000052F8: 7F8A0280
	v_mov_b32_e32 v198, 0                                      // 0000000052FC: 7F8C0280
	v_mov_b32_e32 v199, 0                                      // 000000005300: 7F8E0280
	v_mov_b32_e32 v200, 0                                      // 000000005304: 7F900280
	v_mov_b32_e32 v201, 0                                      // 000000005308: 7F920280

000000000000530c <label_04C3>:
	ds_write_b32 v13, v194                                     // 00000000530C: D81A0000 0000C20D
	ds_write_b32 v13, v195 offset:1056                         // 000000005314: D81A0420 0000C30D
	ds_write_b32 v13, v196 offset:2176                         // 00000000531C: D81A0880 0000C40D
	ds_write_b32 v13, v197 offset:3232                         // 000000005324: D81A0CA0 0000C50D
	ds_write_b32 v13, v198 offset:4352                         // 00000000532C: D81A1100 0000C60D
	ds_write_b32 v13, v199 offset:5408                         // 000000005334: D81A1520 0000C70D
	ds_write_b32 v13, v200 offset:6528                         // 00000000533C: D81A1980 0000C80D
	ds_write_b32 v13, v201 offset:7584                         // 000000005344: D81A1DA0 0000C90D
	s_waitcnt lgkmcnt(0)                                       // 00000000534C: BF8CC07F
	s_barrier                                                  // 000000005350: BF8A0000
	ds_read_b128 a[88:91], v24                                 // 000000005354: DBFE0000 58000018
	ds_read_b128 a[92:95], v24 offset:512                      // 00000000535C: DBFE0200 5C000018
	s_waitcnt vmcnt(8) lgkmcnt(0)                              // 000000005364: BF8C0078
	s_barrier                                                  // 000000005368: BF8A0000
	buffer_load_dword v11, s[24:27], 0 idxen lds               // 00000000536C: E0512000 8006000B
	s_mov_b32 m0, s77                                          // 000000005374: BEFC004D
	v_add_u32_e32 v11, s69, v11                                // 000000005378: 68161645
	v_perm_b32 v100, v37, v36, s63                             // 00000000537C: D1ED0064 00FE4925
	v_perm_b32 v101, v37, v36, s64                             // 000000005384: D1ED0065 01024925
	v_perm_b32 v102, v39, v38, s63                             // 00000000538C: D1ED0066 00FE4D27
	v_perm_b32 v103, v39, v38, s64                             // 000000005394: D1ED0067 01024D27
	ds_write_b32 v15, v100 offset:4352                         // 00000000539C: D81A1100 0000640F
	ds_write_b32 v15, v101 offset:5408                         // 0000000053A4: D81A1520 0000650F
	ds_write_b32 v15, v102 offset:6528                         // 0000000053AC: D81A1980 0000660F
	ds_write_b32 v15, v103 offset:7584                         // 0000000053B4: D81A1DA0 0000670F
	ds_write_b32 v13, v36                                      // 0000000053BC: D81A0000 0000240D
	ds_write_b32 v13, v37 offset:1056                          // 0000000053C4: D81A0420 0000250D
	ds_write_b32 v13, v38 offset:2176                          // 0000000053CC: D81A0880 0000260D
	ds_write_b32 v13, v39 offset:3232                          // 0000000053D4: D81A0CA0 0000270D
	buffer_load_dword v11, s[24:27], 0 idxen lds               // 0000000053DC: E0512000 8006000B
	s_add_u32 s60, 64, s59                                     // 0000000053E4: 803C3BC0
	s_cmp_lt_u32 s60, s58                                      // 0000000053E8: BF0A3A3C
	s_cselect_b32 s69, s69, 0                                  // 0000000053EC: 85458045
	s_mov_b32 m0, s76                                          // 0000000053F0: BEFC004C
	v_add_u32_e32 v11, s69, v11                                // 0000000053F4: 68161645
	v_perm_b32 v104, v45, v44, s63                             // 0000000053F8: D1ED0068 00FE592D
	v_perm_b32 v105, v45, v44, s64                             // 000000005400: D1ED0069 0102592D
	v_perm_b32 v106, v47, v46, s63                             // 000000005408: D1ED006A 00FE5D2F
	v_perm_b32 v107, v47, v46, s64                             // 000000005410: D1ED006B 01025D2F
	ds_write_b32 v15, v104 offset:13056                        // 000000005418: D81A3300 0000680F
	ds_write_b32 v15, v105 offset:14112                        // 000000005420: D81A3720 0000690F
	ds_write_b32 v15, v106 offset:15232                        // 000000005428: D81A3B80 00006A0F
	ds_write_b32 v15, v107 offset:16288                        // 000000005430: D81A3FA0 00006B0F
	ds_write_b32 v13, v44 offset:8704                          // 000000005438: D81A2200 00002C0D
	ds_write_b32 v13, v45 offset:9760                          // 000000005440: D81A2620 00002D0D
	ds_write_b32 v13, v46 offset:10880                         // 000000005448: D81A2A80 00002E0D
	ds_write_b32 v13, v47 offset:11936                         // 000000005450: D81A2EA0 00002F0D
	s_waitcnt vmcnt(1) lgkmcnt(0)                              // 000000005458: BF8C0071
	s_barrier                                                  // 00000000545C: BF8A0000
	ds_read_b128 a[96:99], v12                                 // 000000005460: DBFE0000 6000000C
	ds_read_b128 a[100:103], v12 offset:512                    // 000000005468: DBFE0200 6400000C
	ds_read_b128 a[104:107], v12 offset:2176                   // 000000005470: DBFE0880 6800000C
	ds_read_b128 a[108:111], v12 offset:2688                   // 000000005478: DBFE0A80 6C00000C
	ds_read_b128 v[108:111], v12 offset:8704                   // 000000005480: D9FE2200 6C00000C
	ds_read_b128 v[112:115], v12 offset:9216                   // 000000005488: D9FE2400 7000000C
	ds_read_b128 v[116:119], v12 offset:10880                  // 000000005490: D9FE2A80 7400000C
	ds_read_b128 v[120:123], v12 offset:11392                  // 000000005498: D9FE2C80 7800000C
	ds_read_b32 v140, v23 offset:39424                         // 0000000054A0: D86C9A00 8C000017
	ds_read_b32 v144, v23 offset:39488                         // 0000000054A8: D86C9A40 90000017
	ds_read_b32 v176, v23 offset:39680                         // 0000000054B0: D86C9B00 B0000017
	ds_read_b32 v177, v23 offset:39744                         // 0000000054B8: D86C9B40 B1000017
	v_accvgpr_write_b32 a112, 0                                // 0000000054C0: D3D94070 18000080
	v_mov_b32_e32 v178, 0                                      // 0000000054C8: 7F640280
	v_accvgpr_write_b32 a113, 0                                // 0000000054CC: D3D94071 18000080
	v_mov_b32_e32 v179, 0                                      // 0000000054D4: 7F660280
	v_accvgpr_write_b32 a114, 0                                // 0000000054D8: D3D94072 18000080
	v_mov_b32_e32 v180, 0                                      // 0000000054E0: 7F680280
	v_accvgpr_write_b32 a115, 0                                // 0000000054E4: D3D94073 18000080
	v_mov_b32_e32 v181, 0                                      // 0000000054EC: 7F6A0280
	v_accvgpr_write_b32 a116, 0                                // 0000000054F0: D3D94074 18000080
	v_mov_b32_e32 v182, 0                                      // 0000000054F8: 7F6C0280
	v_accvgpr_write_b32 a117, 0                                // 0000000054FC: D3D94075 18000080
	v_mov_b32_e32 v183, 0                                      // 000000005504: 7F6E0280
	v_accvgpr_write_b32 a118, 0                                // 000000005508: D3D94076 18000080
	v_mov_b32_e32 v184, 0                                      // 000000005510: 7F700280
	v_accvgpr_write_b32 a119, 0                                // 000000005514: D3D94077 18000080
	v_mov_b32_e32 v185, 0                                      // 00000000551C: 7F720280
	v_accvgpr_write_b32 a120, 0                                // 000000005520: D3D94078 18000080
	v_mov_b32_e32 v186, 0                                      // 000000005528: 7F740280
	v_accvgpr_write_b32 a121, 0                                // 00000000552C: D3D94079 18000080
	v_mov_b32_e32 v187, 0                                      // 000000005534: 7F760280
	v_accvgpr_write_b32 a122, 0                                // 000000005538: D3D9407A 18000080
	v_mov_b32_e32 v188, 0                                      // 000000005540: 7F780280
	v_accvgpr_write_b32 a123, 0                                // 000000005544: D3D9407B 18000080
	v_mov_b32_e32 v189, 0                                      // 00000000554C: 7F7A0280
	v_accvgpr_write_b32 a124, 0                                // 000000005550: D3D9407C 18000080
	v_mov_b32_e32 v190, 0                                      // 000000005558: 7F7C0280
	v_accvgpr_write_b32 a125, 0                                // 00000000555C: D3D9407D 18000080
	v_mov_b32_e32 v191, 0                                      // 000000005564: 7F7E0280
	v_accvgpr_write_b32 a126, 0                                // 000000005568: D3D9407E 18000080
	v_mov_b32_e32 v192, 0                                      // 000000005570: 7F800280
	v_accvgpr_write_b32 a127, 0                                // 000000005574: D3D9407F 18000080
	v_mov_b32_e32 v193, 0                                      // 00000000557C: 7F820280
	v_accvgpr_write_b32 a128, 0                                // 000000005580: D3D94080 18000080
	v_mov_b32_e32 v194, 0                                      // 000000005588: 7F840280
	v_accvgpr_write_b32 a129, 0                                // 00000000558C: D3D94081 18000080
	v_mov_b32_e32 v195, 0                                      // 000000005594: 7F860280
	v_accvgpr_write_b32 a130, 0                                // 000000005598: D3D94082 18000080
	v_mov_b32_e32 v196, 0                                      // 0000000055A0: 7F880280
	v_accvgpr_write_b32 a131, 0                                // 0000000055A4: D3D94083 18000080
	v_mov_b32_e32 v197, 0                                      // 0000000055AC: 7F8A0280
	v_accvgpr_write_b32 a132, 0                                // 0000000055B0: D3D94084 18000080
	v_mov_b32_e32 v198, 0                                      // 0000000055B8: 7F8C0280
	v_accvgpr_write_b32 a133, 0                                // 0000000055BC: D3D94085 18000080
	v_mov_b32_e32 v199, 0                                      // 0000000055C4: 7F8E0280
	v_accvgpr_write_b32 a134, 0                                // 0000000055C8: D3D94086 18000080
	v_mov_b32_e32 v200, 0                                      // 0000000055D0: 7F900280
	v_accvgpr_write_b32 a135, 0                                // 0000000055D4: D3D94087 18000080
	v_mov_b32_e32 v201, 0                                      // 0000000055DC: 7F920280
	v_accvgpr_write_b32 a136, 0                                // 0000000055E0: D3D94088 18000080
	v_mov_b32_e32 v202, 0                                      // 0000000055E8: 7F940280
	v_accvgpr_write_b32 a137, 0                                // 0000000055EC: D3D94089 18000080
	v_mov_b32_e32 v203, 0                                      // 0000000055F4: 7F960280
	v_accvgpr_write_b32 a138, 0                                // 0000000055F8: D3D9408A 18000080
	v_mov_b32_e32 v204, 0                                      // 000000005600: 7F980280
	v_accvgpr_write_b32 a139, 0                                // 000000005604: D3D9408B 18000080
	v_mov_b32_e32 v205, 0                                      // 00000000560C: 7F9A0280
	v_accvgpr_write_b32 a140, 0                                // 000000005610: D3D9408C 18000080
	v_mov_b32_e32 v206, 0                                      // 000000005618: 7F9C0280
	v_accvgpr_write_b32 a141, 0                                // 00000000561C: D3D9408D 18000080
	v_mov_b32_e32 v207, 0                                      // 000000005624: 7F9E0280
	v_accvgpr_write_b32 a142, 0                                // 000000005628: D3D9408E 18000080
	v_mov_b32_e32 v208, 0                                      // 000000005630: 7FA00280
	v_accvgpr_write_b32 a143, 0                                // 000000005634: D3D9408F 18000080
	v_mov_b32_e32 v209, 0                                      // 00000000563C: 7FA20280
	v_accvgpr_write_b32 a144, 0                                // 000000005640: D3D94090 18000080
	v_mov_b32_e32 v210, 0                                      // 000000005648: 7FA40280
	v_accvgpr_write_b32 a145, 0                                // 00000000564C: D3D94091 18000080
	v_mov_b32_e32 v211, 0                                      // 000000005654: 7FA60280
	v_accvgpr_write_b32 a146, 0                                // 000000005658: D3D94092 18000080
	v_mov_b32_e32 v212, 0                                      // 000000005660: 7FA80280
	v_accvgpr_write_b32 a147, 0                                // 000000005664: D3D94093 18000080
	v_mov_b32_e32 v213, 0                                      // 00000000566C: 7FAA0280
	v_accvgpr_write_b32 a148, 0                                // 000000005670: D3D94094 18000080
	v_mov_b32_e32 v214, 0                                      // 000000005678: 7FAC0280
	v_accvgpr_write_b32 a149, 0                                // 00000000567C: D3D94095 18000080
	v_mov_b32_e32 v215, 0                                      // 000000005684: 7FAE0280
	v_accvgpr_write_b32 a150, 0                                // 000000005688: D3D94096 18000080
	v_mov_b32_e32 v216, 0                                      // 000000005690: 7FB00280
	v_accvgpr_write_b32 a151, 0                                // 000000005694: D3D94097 18000080
	v_mov_b32_e32 v217, 0                                      // 00000000569C: 7FB20280
	v_accvgpr_write_b32 a152, 0                                // 0000000056A0: D3D94098 18000080
	v_mov_b32_e32 v218, 0                                      // 0000000056A8: 7FB40280
	v_accvgpr_write_b32 a153, 0                                // 0000000056AC: D3D94099 18000080
	v_mov_b32_e32 v219, 0                                      // 0000000056B4: 7FB60280
	v_accvgpr_write_b32 a154, 0                                // 0000000056B8: D3D9409A 18000080
	v_mov_b32_e32 v220, 0                                      // 0000000056C0: 7FB80280
	v_accvgpr_write_b32 a155, 0                                // 0000000056C4: D3D9409B 18000080
	v_mov_b32_e32 v221, 0                                      // 0000000056CC: 7FBA0280
	v_accvgpr_write_b32 a156, 0                                // 0000000056D0: D3D9409C 18000080
	v_mov_b32_e32 v222, 0                                      // 0000000056D8: 7FBC0280
	v_accvgpr_write_b32 a157, 0                                // 0000000056DC: D3D9409D 18000080
	v_mov_b32_e32 v223, 0                                      // 0000000056E4: 7FBE0280
	v_accvgpr_write_b32 a158, 0                                // 0000000056E8: D3D9409E 18000080
	v_mov_b32_e32 v224, 0                                      // 0000000056F0: 7FC00280
	v_accvgpr_write_b32 a159, 0                                // 0000000056F4: D3D9409F 18000080
	v_mov_b32_e32 v225, 0                                      // 0000000056FC: 7FC20280
	v_mov_b32_e32 v156, 0                                      // 000000005700: 7F380280
	v_mov_b32_e32 v157, 0                                      // 000000005704: 7F3A0280
	v_mov_b32_e32 v158, 0                                      // 000000005708: 7F3C0280
	v_mov_b32_e32 v159, 0                                      // 00000000570C: 7F3E0280
	v_mov_b32_e32 v160, 0                                      // 000000005710: 7F400280
	v_mov_b32_e32 v161, 0                                      // 000000005714: 7F420280
	v_mov_b32_e32 v162, 0                                      // 000000005718: 7F440280
	v_mov_b32_e32 v163, 0                                      // 00000000571C: 7F460280
	v_mov_b32_e32 v148, 0                                      // 000000005720: 7F280280
	v_mov_b32_e32 v149, 0                                      // 000000005724: 7F2A0280
	v_mov_b32_e32 v150, 0                                      // 000000005728: 7F2C0280
	v_mov_b32_e32 v151, 0                                      // 00000000572C: 7F2E0280
	v_mov_b32_e32 v152, 0                                      // 000000005730: 7F300280
	v_mov_b32_e32 v153, 0                                      // 000000005734: 7F320280
	v_mov_b32_e32 v154, 0                                      // 000000005738: 7F340280
	v_mov_b32_e32 v155, 0                                      // 00000000573C: 7F360280
	s_waitcnt lgkmcnt(0)                                       // 000000005740: BF8CC07F
	s_barrier                                                  // 000000005744: BF8A0000
	buffer_load_dword v36, v1, s[8:11], 0 idxen                // 000000005748: E0502000 80022401
	buffer_load_dword v37, v2, s[8:11], 0 idxen                // 000000005750: E0502000 80022502
	;; [unrolled: 1-line block ×4, first 2 shown]
	buffer_load_dword v44, v231, s[20:23], 0 idxen             // 000000005768: E0502000 80052CE7
	buffer_load_dword v45, v232, s[20:23], 0 idxen             // 000000005770: E0502000 80052DE8
	buffer_load_dword v46, v233, s[20:23], 0 idxen             // 000000005778: E0502000 80052EE9
	buffer_load_dword v47, v234, s[20:23], 0 idxen             // 000000005780: E0502000 80052FEA
	buffer_load_dword v11, s[24:27], 0 idxen lds               // 000000005788: E0512000 8006000B
	s_add_u32 s60, 0x60, s59                                   // 000000005790: 803C3BFF 00000060
	s_cmp_lt_u32 s60, s58                                      // 000000005798: BF0A3A3C
	s_cselect_b32 s68, s68, 0                                  // 00000000579C: 85448044
	s_cselect_b32 s95, s95, 0                                  // 0000000057A0: 855F805F
	s_cselect_b32 s69, s69, 0                                  // 0000000057A4: 85458045
	s_mov_b32 m0, s77                                          // 0000000057A8: BEFC004D
	v_add_u32_e32 v11, s69, v11                                // 0000000057AC: 68161645
	v_add_u32_e32 v1, s68, v1                                  // 0000000057B0: 68020244
	v_add_u32_e32 v2, s68, v2                                  // 0000000057B4: 68040444
	v_add_u32_e32 v3, s68, v3                                  // 0000000057B8: 68060644
	v_add_u32_e32 v4, s68, v4                                  // 0000000057BC: 68080844
	v_add_u32_e32 v231, s95, v231                              // 0000000057C0: 69CFCE5F
	v_add_u32_e32 v232, s95, v232                              // 0000000057C4: 69D1D05F
	v_add_u32_e32 v233, s95, v233                              // 0000000057C8: 69D3D25F
	v_add_u32_e32 v234, s95, v234                              // 0000000057CC: 69D5D45F
	v_mul_f32_e32 v140, s48, v140                              // 0000000057D0: 0B191830
	v_mul_f32_e32 v144, s48, v144                              // 0000000057D4: 0B212030
	v_perm_b32 v100, v41, v40, s63                             // 0000000057D8: D1ED0064 00FE5129
	v_perm_b32 v101, v41, v40, s64                             // 0000000057E0: D1ED0065 01025129
	v_perm_b32 v102, v43, v42, s63                             // 0000000057E8: D1ED0066 00FE552B
	v_perm_b32 v103, v43, v42, s64                             // 0000000057F0: D1ED0067 0102552B
	v_perm_b32 v104, v49, v48, s63                             // 0000000057F8: D1ED0068 00FE6131
	v_perm_b32 v105, v49, v48, s64                             // 000000005800: D1ED0069 01026131
	v_perm_b32 v106, v51, v50, s63                             // 000000005808: D1ED006A 00FE6533
	v_perm_b32 v107, v51, v50, s64                             // 000000005810: D1ED006B 01026533
	v_mov_b32_dpp v143, v140 quad_perm:[3,3,3,3] row_mask:0xf bank_mask:0xf// 000000005818: 7F1E02FA FF00FF8C
	v_mov_b32_dpp v142, v140 quad_perm:[2,2,2,2] row_mask:0xf bank_mask:0xf// 000000005820: 7F1C02FA FF00AA8C
	v_mov_b32_dpp v141, v140 quad_perm:[1,1,1,1] row_mask:0xf bank_mask:0xf// 000000005828: 7F1A02FA FF00558C
	v_mov_b32_dpp v140, v140 quad_perm:[0,0,0,0] row_mask:0xf bank_mask:0xf// 000000005830: 7F1802FA FF00008C
	v_mov_b32_dpp v147, v144 quad_perm:[3,3,3,3] row_mask:0xf bank_mask:0xf// 000000005838: 7F2602FA FF00FF90
	v_mov_b32_dpp v146, v144 quad_perm:[2,2,2,2] row_mask:0xf bank_mask:0xf// 000000005840: 7F2402FA FF00AA90
	v_mov_b32_dpp v145, v144 quad_perm:[1,1,1,1] row_mask:0xf bank_mask:0xf// 000000005848: 7F2202FA FF005590
	v_mov_b32_dpp v144, v144 quad_perm:[0,0,0,0] row_mask:0xf bank_mask:0xf// 000000005850: 7F2002FA FF000090
	s_waitcnt vmcnt(9)                                         // 000000005858: BF8C0F79
	s_barrier                                                  // 00000000585C: BF8A0000
	s_cmp_lt_i32 s46, 2                                        // 000000005860: BF04822E
	s_cbranch_scc0 label_0FE4                                  // 000000005864: BF8409B8
	s_nop 0                                                    // 000000005868: BF800000
	s_nop 0                                                    // 00000000586C: BF800000

0000000000005870 <label_061C>:
	s_waitcnt lgkmcnt(0)                                       // 000000005870: BF8CC07F
	s_barrier                                                  // 000000005874: BF8A0000
	v_mfma_f32_16x16x16_bf16 v[52:55], a[96:97], a[0:1], 0     // 000000005878: D3E10034 1A020160
	ds_write_b32 v13, v48 offset:8704                          // 000000005880: D81A2200 0000300D
	ds_write_b32 v13, v49 offset:9760                          // 000000005888: D81A2620 0000310D
	v_mfma_f32_16x16x16_bf16 v[52:55], a[98:99], a[2:3], v[52:55]// 000000005890: D3E10034 1CD20562
	v_mul_f32_e32 v148, s47, v148                              // 000000005898: 0B29282F
	v_mul_f32_e32 v149, s47, v149                              // 00000000589C: 0B2B2A2F
	v_mfma_f32_16x16x16_bf16 v[52:55], a[100:101], a[4:5], v[52:55]// 0000000058A0: D3E10034 1CD20964
	ds_write_b32 v13, v50 offset:10880                         // 0000000058A8: D81A2A80 0000320D
	ds_write_b32 v13, v51 offset:11936                         // 0000000058B0: D81A2EA0 0000330D
	v_mfma_f32_16x16x16_bf16 v[52:55], a[102:103], a[6:7], v[52:55]// 0000000058B8: D3E10034 1CD20D66
	v_mul_f32_e32 v150, s47, v150                              // 0000000058C0: 0B2D2C2F
	v_mul_f32_e32 v151, s47, v151                              // 0000000058C4: 0B2F2E2F
	v_mfma_f32_16x16x16_bf16 v[56:59], a[96:97], a[8:9], 0     // 0000000058C8: D3E10038 1A021160
	ds_write_b64 v22, v[148:149] offset:31232                  // 0000000058D0: D89A7A00 00009416
	v_mfma_f32_16x16x16_bf16 v[56:59], a[98:99], a[10:11], v[56:59]// 0000000058D8: D3E10038 1CE21562
	v_mul_f32_e32 v152, s47, v152                              // 0000000058E0: 0B31302F
	v_mul_f32_e32 v153, s47, v153                              // 0000000058E4: 0B33322F
	v_mfma_f32_16x16x16_bf16 v[56:59], a[100:101], a[12:13], v[56:59]// 0000000058E8: D3E10038 1CE21964
	ds_write_b64 v22, v[150:151] offset:31744                  // 0000000058F0: D89A7C00 00009616
	v_mfma_f32_16x16x16_bf16 v[56:59], a[102:103], a[14:15], v[56:59]// 0000000058F8: D3E10038 1CE21D66
	v_mul_f32_e32 v154, s47, v154                              // 000000005900: 0B35342F
	v_mul_f32_e32 v155, s47, v155                              // 000000005904: 0B37362F
	v_mfma_f32_16x16x16_bf16 v[60:63], a[96:97], a[16:17], 0   // 000000005908: D3E1003C 1A022160
	ds_write_b64 v22, v[152:153] offset:32256                  // 000000005910: D89A7E00 00009816
	v_mfma_f32_16x16x16_bf16 v[60:63], a[98:99], a[18:19], v[60:63]// 000000005918: D3E1003C 1CF22562
	buffer_atomic_add_f32 v160, v8, s[32:35], 0 idxen          // 000000005920: E1342000 8008A008
	v_mfma_f32_16x16x16_bf16 v[60:63], a[100:101], a[20:21], v[60:63]// 000000005928: D3E1003C 1CF22964
	ds_write_b64 v22, v[154:155] offset:32768                  // 000000005930: D89A8000 00009A16
	v_mfma_f32_16x16x16_bf16 v[60:63], a[102:103], a[22:23], v[60:63]// 000000005938: D3E1003C 1CF22D66
	v_mfma_f32_16x16x16_bf16 v[64:67], a[104:105], a[0:1], 0   // 000000005940: D3E10040 1A020168
	ds_read_b128 v[124:127], v14 offset:13056                  // 000000005948: D9FE3300 7C00000E
	ds_write_b32 v13, v40                                      // 000000005950: D81A0000 0000280D
	v_mfma_f32_16x16x16_bf16 v[64:67], a[106:107], a[2:3], v[64:67]// 000000005958: D3E10040 1D02056A
	buffer_atomic_add_f32 v161, v9, s[32:35], 0 idxen          // 000000005960: E1342000 8008A109
	v_mfma_f32_16x16x16_bf16 v[64:67], a[108:109], a[4:5], v[64:67]// 000000005968: D3E10040 1D02096C
	v_mfma_f32_16x16x16_bf16 v[64:67], a[110:111], a[6:7], v[64:67]// 000000005970: D3E10040 1D020D6E
	ds_read_b128 v[128:131], v14 offset:13568                  // 000000005978: D9FE3500 8000000E
	ds_write_b32 v13, v41 offset:1056                          // 000000005980: D81A0420 0000290D
	v_mfma_f32_16x16x16_bf16 v[68:71], a[104:105], a[8:9], 0   // 000000005988: D3E10044 1A021168
	buffer_atomic_add_f32 v162, v8, s[32:35], 0 idxen offset:128// 000000005990: E1342080 8008A208
	v_mfma_f32_16x16x16_bf16 v[68:71], a[106:107], a[10:11], v[68:71]// 000000005998: D3E10044 1D12156A
	v_mfma_f32_16x16x16_bf16 v[68:71], a[108:109], a[12:13], v[68:71]// 0000000059A0: D3E10044 1D12196C
	ds_read_b128 v[132:135], v14 offset:15232                  // 0000000059A8: D9FE3B80 8400000E
	ds_write_b32 v13, v42 offset:2176                          // 0000000059B0: D81A0880 00002A0D
	v_mfma_f32_16x16x16_bf16 v[68:71], a[110:111], a[14:15], v[68:71]// 0000000059B8: D3E10044 1D121D6E
	v_mfma_f32_16x16x16_bf16 v[72:75], a[104:105], a[16:17], 0 // 0000000059C0: D3E10048 1A022168
	buffer_atomic_add_f32 v163, v9, s[32:35], 0 idxen offset:128// 0000000059C8: E1342080 8008A309
	v_mfma_f32_16x16x16_bf16 v[72:75], a[106:107], a[18:19], v[72:75]// 0000000059D0: D3E10048 1D22256A
	ds_read_b128 v[136:139], v14 offset:15744                  // 0000000059D8: D9FE3D80 8800000E
	ds_write_b32 v13, v43 offset:3232                          // 0000000059E0: D81A0CA0 00002B0D
	v_mfma_f32_16x16x16_bf16 v[72:75], a[108:109], a[20:21], v[72:75]// 0000000059E8: D3E10048 1D22296C
	v_mfma_f32_16x16x16_bf16 v[72:75], a[110:111], a[22:23], v[72:75]// 0000000059F0: D3E10048 1D222D6E
	s_cmp_lt_i32 s97, 0xc0                                     // 0000000059F8: BF04FF61 000000C0
	s_cbranch_scc0 label_06F7                                  // 000000005A00: BF84006D
	s_cmp_le_i32 s97, 64                                       // 000000005A04: BF05C061
	s_cbranch_scc1 label_068A                                  // 000000005A08: BF850007
	s_cmp_le_i32 s97, 0x80                                     // 000000005A0C: BF05FF61 00000080
	s_cbranch_scc1 label_06AE                                  // 000000005A14: BF85001F
	s_cmp_lt_i32 s97, 0xc0                                     // 000000005A18: BF04FF61 000000C0
	s_cbranch_scc1 label_06D2                                  // 000000005A20: BF850040
	s_branch label_06F7                                        // 000000005A24: BF820064

0000000000005a28 <label_068A>:
	s_mov_b32 s60, 0                                           // 000000005A28: BEBC0080
	v_and_b32_e32 v32, 15, v0                                  // 000000005A2C: 2640008F
	v_add_u32_e64 v32, v32, s60                                // 000000005A30: D1340020 00007920
	v_mul_i32_i24_e64 v33, s46, 16                             // 000000005A38: D1060021 0001202E
	v_add_u32_e32 v32, v32, v33                                // 000000005A40: 68404320
	v_cmp_lt_u32_e64 s[60:61], v32, s97                        // 000000005A44: D0C9003C 0000C320
	s_nop 1                                                    // 000000005A4C: BF800001
	v_cndmask_b32_e64 v52, v230, v52, s[60:61]                 // 000000005A50: D1000034 00F269E6
	v_cndmask_b32_e64 v64, v230, v64, s[60:61]                 // 000000005A58: D1000040 00F281E6
	v_cndmask_b32_e64 v53, v230, v53, s[60:61]                 // 000000005A60: D1000035 00F26BE6
	v_cndmask_b32_e64 v65, v230, v65, s[60:61]                 // 000000005A68: D1000041 00F283E6
	v_cndmask_b32_e64 v54, v230, v54, s[60:61]                 // 000000005A70: D1000036 00F26DE6
	v_cndmask_b32_e64 v66, v230, v66, s[60:61]                 // 000000005A78: D1000042 00F285E6
	v_cndmask_b32_e64 v55, v230, v55, s[60:61]                 // 000000005A80: D1000037 00F26FE6
	v_cndmask_b32_e64 v67, v230, v67, s[60:61]                 // 000000005A88: D1000043 00F287E6
	s_branch label_06C9                                        // 000000005A90: BF82001B

0000000000005a94 <label_06AE>:
	s_mov_b32 s60, 64                                          // 000000005A94: BEBC00C0
	v_and_b32_e32 v32, 15, v0                                  // 000000005A98: 2640008F
	v_add_u32_e64 v32, v32, s60                                // 000000005A9C: D1340020 00007920
	v_mul_i32_i24_e64 v33, s46, 16                             // 000000005AA4: D1060021 0001202E
	v_add_u32_e32 v32, v32, v33                                // 000000005AAC: 68404320
	v_cmp_lt_u32_e64 s[60:61], v32, s97                        // 000000005AB0: D0C9003C 0000C320
	s_nop 1                                                    // 000000005AB8: BF800001
	v_cndmask_b32_e64 v56, v230, v56, s[60:61]                 // 000000005ABC: D1000038 00F271E6
	v_cndmask_b32_e64 v68, v230, v68, s[60:61]                 // 000000005AC4: D1000044 00F289E6
	v_cndmask_b32_e64 v57, v230, v57, s[60:61]                 // 000000005ACC: D1000039 00F273E6
	v_cndmask_b32_e64 v69, v230, v69, s[60:61]                 // 000000005AD4: D1000045 00F28BE6
	v_cndmask_b32_e64 v58, v230, v58, s[60:61]                 // 000000005ADC: D100003A 00F275E6
	v_cndmask_b32_e64 v70, v230, v70, s[60:61]                 // 000000005AE4: D1000046 00F28DE6
	v_cndmask_b32_e64 v59, v230, v59, s[60:61]                 // 000000005AEC: D100003B 00F277E6
	v_cndmask_b32_e64 v71, v230, v71, s[60:61]                 // 000000005AF4: D1000047 00F28FE6
	s_branch label_06EE                                        // 000000005AFC: BF820025

0000000000005b00 <label_06C9>:
	v_mov_b32_e32 v56, v230                                    // 000000005B00: 7E7003E6
	v_mov_b32_e32 v68, v230                                    // 000000005B04: 7E8803E6
	v_mov_b32_e32 v57, v230                                    // 000000005B08: 7E7203E6
	v_mov_b32_e32 v69, v230                                    // 000000005B0C: 7E8A03E6
	v_mov_b32_e32 v58, v230                                    // 000000005B10: 7E7403E6
	v_mov_b32_e32 v70, v230                                    // 000000005B14: 7E8C03E6
	v_mov_b32_e32 v59, v230                                    // 000000005B18: 7E7603E6
	v_mov_b32_e32 v71, v230                                    // 000000005B1C: 7E8E03E6
	s_branch label_06EE                                        // 000000005B20: BF82001C

0000000000005b24 <label_06D2>:
	s_mov_b32 s60, 0x80                                        // 000000005B24: BEBC00FF 00000080
	v_and_b32_e32 v32, 15, v0                                  // 000000005B2C: 2640008F
	v_add_u32_e64 v32, v32, s60                                // 000000005B30: D1340020 00007920
	v_mul_i32_i24_e64 v33, s46, 16                             // 000000005B38: D1060021 0001202E
	v_add_u32_e32 v32, v32, v33                                // 000000005B40: 68404320
	v_cmp_lt_u32_e64 s[60:61], v32, s97                        // 000000005B44: D0C9003C 0000C320
	s_nop 1                                                    // 000000005B4C: BF800001
	v_cndmask_b32_e64 v60, v230, v60, s[60:61]                 // 000000005B50: D100003C 00F279E6
	v_cndmask_b32_e64 v72, v230, v72, s[60:61]                 // 000000005B58: D1000048 00F291E6
	v_cndmask_b32_e64 v61, v230, v61, s[60:61]                 // 000000005B60: D100003D 00F27BE6
	v_cndmask_b32_e64 v73, v230, v73, s[60:61]                 // 000000005B68: D1000049 00F293E6
	v_cndmask_b32_e64 v62, v230, v62, s[60:61]                 // 000000005B70: D100003E 00F27DE6
	v_cndmask_b32_e64 v74, v230, v74, s[60:61]                 // 000000005B78: D100004A 00F295E6
	v_cndmask_b32_e64 v63, v230, v63, s[60:61]                 // 000000005B80: D100003F 00F27FE6
	v_cndmask_b32_e64 v75, v230, v75, s[60:61]                 // 000000005B88: D100004B 00F297E6
	s_branch label_06F7                                        // 000000005B90: BF820009

0000000000005b94 <label_06EE>:
	v_mov_b32_e32 v60, v230                                    // 000000005B94: 7E7803E6
	v_mov_b32_e32 v72, v230                                    // 000000005B98: 7E9003E6
	v_mov_b32_e32 v61, v230                                    // 000000005B9C: 7E7A03E6
	v_mov_b32_e32 v73, v230                                    // 000000005BA0: 7E9203E6
	v_mov_b32_e32 v62, v230                                    // 000000005BA4: 7E7C03E6
	v_mov_b32_e32 v74, v230                                    // 000000005BA8: 7E9403E6
	v_mov_b32_e32 v63, v230                                    // 000000005BAC: 7E7E03E6
	v_mov_b32_e32 v75, v230                                    // 000000005BB0: 7E9603E6
	s_branch label_06F7                                        // 000000005BB4: BF820000

0000000000005bb8 <label_06F7>:
	s_waitcnt lgkmcnt(8)                                       // 000000005BB8: BF8CC87F
	s_barrier                                                  // 000000005BBC: BF8A0000
	v_mfma_f32_16x16x16_bf16 v[76:79], v[108:109], a[72:73], 0 // 000000005BC0: D3E1004C 1202916C
	ds_read_b128 a[96:99], v14 offset:4352                     // 000000005BC8: DBFE1100 6000000E
	ds_read_b128 a[100:103], v14 offset:4864                   // 000000005BD0: DBFE1300 6400000E
	v_mfma_f32_16x16x16_bf16 v[76:79], v[110:111], a[74:75], v[76:79]// 000000005BD8: D3E1004C 1532956E
	v_fma_f32 v52, v52, s57, -v140                             // 000000005BE0: D1CB0034 86307334
	v_fma_f32 v53, v53, s57, -v141                             // 000000005BE8: D1CB0035 86347335
	v_fma_f32 v54, v54, s57, -v142                             // 000000005BF0: D1CB0036 86387336
	v_fma_f32 v55, v55, s57, -v143                             // 000000005BF8: D1CB0037 863C7337
	v_fma_f32 v56, v56, s57, -v140                             // 000000005C00: D1CB0038 86307338
	v_fma_f32 v57, v57, s57, -v141                             // 000000005C08: D1CB0039 86347339
	v_mfma_f32_16x16x16_bf16 v[76:79], v[112:113], a[76:77], v[76:79]// 000000005C10: D3E1004C 15329970
	v_fma_f32 v58, v58, s57, -v142                             // 000000005C18: D1CB003A 8638733A
	v_fma_f32 v59, v59, s57, -v143                             // 000000005C20: D1CB003B 863C733B
	v_fma_f32 v60, v60, s57, -v140                             // 000000005C28: D1CB003C 8630733C
	v_fma_f32 v61, v61, s57, -v141                             // 000000005C30: D1CB003D 8634733D
	v_fma_f32 v62, v62, s57, -v142                             // 000000005C38: D1CB003E 8638733E
	v_fma_f32 v63, v63, s57, -v143                             // 000000005C40: D1CB003F 863C733F
	v_mfma_f32_16x16x16_bf16 v[76:79], v[114:115], a[78:79], v[76:79]// 000000005C48: D3E1004C 15329D72
	v_fma_f32 v64, v64, s57, -v144                             // 000000005C50: D1CB0040 86407340
	v_fma_f32 v65, v65, s57, -v145                             // 000000005C58: D1CB0041 86447341
	v_fma_f32 v66, v66, s57, -v146                             // 000000005C60: D1CB0042 86487342
	v_fma_f32 v67, v67, s57, -v147                             // 000000005C68: D1CB0043 864C7343
	v_fma_f32 v68, v68, s57, -v144                             // 000000005C70: D1CB0044 86407344
	v_fma_f32 v69, v69, s57, -v145                             // 000000005C78: D1CB0045 86447345
	v_mfma_f32_16x16x16_bf16 v[80:83], v[108:109], a[80:81], 0 // 000000005C80: D3E10050 1202A16C
	ds_read_b128 a[104:107], v14 offset:6528                   // 000000005C88: DBFE1980 6800000E
	ds_read_b128 a[108:111], v14 offset:7040                   // 000000005C90: DBFE1B80 6C00000E
	v_mfma_f32_16x16x16_bf16 v[80:83], v[110:111], a[82:83], v[80:83]// 000000005C98: D3E10050 1542A56E
	v_fma_f32 v70, v70, s57, -v146                             // 000000005CA0: D1CB0046 86487346
	v_fma_f32 v71, v71, s57, -v147                             // 000000005CA8: D1CB0047 864C7347
	v_fma_f32 v72, v72, s57, -v144                             // 000000005CB0: D1CB0048 86407348
	v_fma_f32 v73, v73, s57, -v145                             // 000000005CB8: D1CB0049 86447349
	v_fma_f32 v74, v74, s57, -v146                             // 000000005CC0: D1CB004A 8648734A
	v_fma_f32 v75, v75, s57, -v147                             // 000000005CC8: D1CB004B 864C734B
	v_mfma_f32_16x16x16_bf16 v[80:83], v[112:113], a[84:85], v[80:83]// 000000005CD0: D3E10050 1542A970
	v_exp_f32_e32 v52, v52                                     // 000000005CD8: 7E684134
	v_exp_f32_e32 v53, v53                                     // 000000005CDC: 7E6A4135
	v_mfma_f32_16x16x16_bf16 v[80:83], v[114:115], a[86:87], v[80:83]// 000000005CE0: D3E10050 1542AD72
	v_exp_f32_e32 v54, v54                                     // 000000005CE8: 7E6C4136
	v_exp_f32_e32 v55, v55                                     // 000000005CEC: 7E6E4137
	v_mfma_f32_16x16x16_bf16 v[84:87], v[108:109], a[88:89], 0 // 000000005CF0: D3E10054 1202B16C
	ds_read_b64 v[156:157], v21 offset:31232                   // 000000005CF8: D8EC7A00 9C000015
	ds_read_b64 v[158:159], v21 offset:33280                   // 000000005D00: D8EC8200 9E000015
	v_mfma_f32_16x16x16_bf16 v[84:87], v[110:111], a[90:91], v[84:87]// 000000005D08: D3E10054 1552B56E
	v_exp_f32_e32 v56, v56                                     // 000000005D10: 7E704138
	v_exp_f32_e32 v57, v57                                     // 000000005D14: 7E724139
	v_mfma_f32_16x16x16_bf16 v[84:87], v[112:113], a[92:93], v[84:87]// 000000005D18: D3E10054 1552B970
	ds_read_b64 v[160:161], v21 offset:35328                   // 000000005D20: D8EC8A00 A0000015
	ds_read_b64 v[162:163], v21 offset:37376                   // 000000005D28: D8EC9200 A2000015
	v_mfma_f32_16x16x16_bf16 v[84:87], v[114:115], a[94:95], v[84:87]// 000000005D30: D3E10054 1552BD72
	v_exp_f32_e32 v58, v58                                     // 000000005D38: 7E74413A
	v_exp_f32_e32 v59, v59                                     // 000000005D3C: 7E76413B
	v_mfma_f32_16x16x16_bf16 v[88:91], v[116:117], a[72:73], 0 // 000000005D40: D3E10058 12029174
	v_exp_f32_e32 v60, v60                                     // 000000005D48: 7E78413C
	v_exp_f32_e32 v61, v61                                     // 000000005D4C: 7E7A413D
	v_mfma_f32_16x16x16_bf16 v[88:91], v[118:119], a[74:75], v[88:91]// 000000005D50: D3E10058 15629576
	v_exp_f32_e32 v62, v62                                     // 000000005D58: 7E7C413E
	v_exp_f32_e32 v63, v63                                     // 000000005D5C: 7E7E413F
	v_mfma_f32_16x16x16_bf16 v[88:91], v[120:121], a[76:77], v[88:91]// 000000005D60: D3E10058 15629978
	v_exp_f32_e32 v64, v64                                     // 000000005D68: 7E804140
	v_exp_f32_e32 v65, v65                                     // 000000005D6C: 7E824141
	v_mfma_f32_16x16x16_bf16 v[88:91], v[122:123], a[78:79], v[88:91]// 000000005D70: D3E10058 15629D7A
	v_exp_f32_e32 v66, v66                                     // 000000005D78: 7E844142
	v_exp_f32_e32 v67, v67                                     // 000000005D7C: 7E864143
	v_mfma_f32_16x16x16_bf16 v[92:95], v[116:117], a[80:81], 0 // 000000005D80: D3E1005C 1202A174
	v_exp_f32_e32 v68, v68                                     // 000000005D88: 7E884144
	v_exp_f32_e32 v69, v69                                     // 000000005D8C: 7E8A4145
	v_mfma_f32_16x16x16_bf16 v[92:95], v[118:119], a[82:83], v[92:95]// 000000005D90: D3E1005C 1572A576
	v_exp_f32_e32 v70, v70                                     // 000000005D98: 7E8C4146
	v_exp_f32_e32 v71, v71                                     // 000000005D9C: 7E8E4147
	v_mfma_f32_16x16x16_bf16 v[92:95], v[120:121], a[84:85], v[92:95]// 000000005DA0: D3E1005C 1572A978
	v_exp_f32_e32 v72, v72                                     // 000000005DA8: 7E904148
	v_exp_f32_e32 v73, v73                                     // 000000005DAC: 7E924149
	v_mfma_f32_16x16x16_bf16 v[92:95], v[122:123], a[86:87], v[92:95]// 000000005DB0: D3E1005C 1572AD7A
	v_exp_f32_e32 v74, v74                                     // 000000005DB8: 7E94414A
	v_exp_f32_e32 v75, v75                                     // 000000005DBC: 7E96414B
	v_mfma_f32_16x16x16_bf16 v[96:99], v[116:117], a[88:89], 0 // 000000005DC0: D3E10060 1202B174
	v_cmp_u_f32_e64 s[74:75], v52, v52                         // 000000005DC8: D048004A 00026934
	v_bfe_u32 v226, v52, 16, 1                                 // 000000005DD0: D1C800E2 02052134
	v_add3_u32 v226, v52, v226, v229                           // 000000005DD8: D1FF00E2 0797C534
	v_cndmask_b32_e64 v32, v226, v228, s[74:75]                // 000000005DE0: D1000020 012BC9E2
	v_lshrrev_b32_e32 v32, 16, v32                             // 000000005DE8: 20404090
	v_cmp_u_f32_e64 s[74:75], v53, v53                         // 000000005DEC: D048004A 00026B35
	v_bfe_u32 v226, v53, 16, 1                                 // 000000005DF4: D1C800E2 02052135
	v_add3_u32 v226, v53, v226, v229                           // 000000005DFC: D1FF00E2 0797C535
	v_cndmask_b32_e64 v33, v226, v228, s[74:75]                // 000000005E04: D1000021 012BC9E2
	v_and_or_b32 v164, v33, v227, v32                          // 000000005E0C: D20100A4 0483C721
	v_cmp_u_f32_e64 s[74:75], v54, v54                         // 000000005E14: D048004A 00026D36
	v_bfe_u32 v226, v54, 16, 1                                 // 000000005E1C: D1C800E2 02052136
	v_add3_u32 v226, v54, v226, v229                           // 000000005E24: D1FF00E2 0797C536
	v_cndmask_b32_e64 v32, v226, v228, s[74:75]                // 000000005E2C: D1000020 012BC9E2
	v_lshrrev_b32_e32 v32, 16, v32                             // 000000005E34: 20404090
	v_cmp_u_f32_e64 s[74:75], v55, v55                         // 000000005E38: D048004A 00026F37
	v_bfe_u32 v226, v55, 16, 1                                 // 000000005E40: D1C800E2 02052137
	v_add3_u32 v226, v55, v226, v229                           // 000000005E48: D1FF00E2 0797C537
	v_cndmask_b32_e64 v33, v226, v228, s[74:75]                // 000000005E50: D1000021 012BC9E2
	v_and_or_b32 v165, v33, v227, v32                          // 000000005E58: D20100A5 0483C721
	v_cmp_u_f32_e64 s[74:75], v56, v56                         // 000000005E60: D048004A 00027138
	v_bfe_u32 v226, v56, 16, 1                                 // 000000005E68: D1C800E2 02052138
	v_add3_u32 v226, v56, v226, v229                           // 000000005E70: D1FF00E2 0797C538
	v_cndmask_b32_e64 v32, v226, v228, s[74:75]                // 000000005E78: D1000020 012BC9E2
	v_lshrrev_b32_e32 v32, 16, v32                             // 000000005E80: 20404090
	v_cmp_u_f32_e64 s[74:75], v57, v57                         // 000000005E84: D048004A 00027339
	v_bfe_u32 v226, v57, 16, 1                                 // 000000005E8C: D1C800E2 02052139
	v_add3_u32 v226, v57, v226, v229                           // 000000005E94: D1FF00E2 0797C539
	v_cndmask_b32_e64 v33, v226, v228, s[74:75]                // 000000005E9C: D1000021 012BC9E2
	v_and_or_b32 v166, v33, v227, v32                          // 000000005EA4: D20100A6 0483C721
	v_cmp_u_f32_e64 s[74:75], v58, v58                         // 000000005EAC: D048004A 0002753A
	v_bfe_u32 v226, v58, 16, 1                                 // 000000005EB4: D1C800E2 0205213A
	v_add3_u32 v226, v58, v226, v229                           // 000000005EBC: D1FF00E2 0797C53A
	v_cndmask_b32_e64 v32, v226, v228, s[74:75]                // 000000005EC4: D1000020 012BC9E2
	v_lshrrev_b32_e32 v32, 16, v32                             // 000000005ECC: 20404090
	v_cmp_u_f32_e64 s[74:75], v59, v59                         // 000000005ED0: D048004A 0002773B
	v_bfe_u32 v226, v59, 16, 1                                 // 000000005ED8: D1C800E2 0205213B
	v_add3_u32 v226, v59, v226, v229                           // 000000005EE0: D1FF00E2 0797C53B
	v_cndmask_b32_e64 v33, v226, v228, s[74:75]                // 000000005EE8: D1000021 012BC9E2
	v_and_or_b32 v167, v33, v227, v32                          // 000000005EF0: D20100A7 0483C721
	v_cmp_u_f32_e64 s[74:75], v60, v60                         // 000000005EF8: D048004A 0002793C
	v_bfe_u32 v226, v60, 16, 1                                 // 000000005F00: D1C800E2 0205213C
	v_add3_u32 v226, v60, v226, v229                           // 000000005F08: D1FF00E2 0797C53C
	v_cndmask_b32_e64 v32, v226, v228, s[74:75]                // 000000005F10: D1000020 012BC9E2
	v_lshrrev_b32_e32 v32, 16, v32                             // 000000005F18: 20404090
	v_cmp_u_f32_e64 s[74:75], v61, v61                         // 000000005F1C: D048004A 00027B3D
	v_bfe_u32 v226, v61, 16, 1                                 // 000000005F24: D1C800E2 0205213D
	v_add3_u32 v226, v61, v226, v229                           // 000000005F2C: D1FF00E2 0797C53D
	v_cndmask_b32_e64 v33, v226, v228, s[74:75]                // 000000005F34: D1000021 012BC9E2
	v_and_or_b32 v168, v33, v227, v32                          // 000000005F3C: D20100A8 0483C721
	v_cmp_u_f32_e64 s[74:75], v62, v62                         // 000000005F44: D048004A 00027D3E
	v_bfe_u32 v226, v62, 16, 1                                 // 000000005F4C: D1C800E2 0205213E
	v_add3_u32 v226, v62, v226, v229                           // 000000005F54: D1FF00E2 0797C53E
	v_cndmask_b32_e64 v32, v226, v228, s[74:75]                // 000000005F5C: D1000020 012BC9E2
	v_lshrrev_b32_e32 v32, 16, v32                             // 000000005F64: 20404090
	v_cmp_u_f32_e64 s[74:75], v63, v63                         // 000000005F68: D048004A 00027F3F
	v_bfe_u32 v226, v63, 16, 1                                 // 000000005F70: D1C800E2 0205213F
	v_add3_u32 v226, v63, v226, v229                           // 000000005F78: D1FF00E2 0797C53F
	v_cndmask_b32_e64 v33, v226, v228, s[74:75]                // 000000005F80: D1000021 012BC9E2
	v_and_or_b32 v169, v33, v227, v32                          // 000000005F88: D20100A9 0483C721
	v_mfma_f32_16x16x16_bf16 v[96:99], v[118:119], a[90:91], v[96:99]// 000000005F90: D3E10060 1582B576
	v_cmp_u_f32_e64 s[74:75], v64, v64                         // 000000005F98: D048004A 00028140
	v_bfe_u32 v226, v64, 16, 1                                 // 000000005FA0: D1C800E2 02052140
	v_add3_u32 v226, v64, v226, v229                           // 000000005FA8: D1FF00E2 0797C540
	v_cndmask_b32_e64 v32, v226, v228, s[74:75]                // 000000005FB0: D1000020 012BC9E2
	v_lshrrev_b32_e32 v32, 16, v32                             // 000000005FB8: 20404090
	v_cmp_u_f32_e64 s[74:75], v65, v65                         // 000000005FBC: D048004A 00028341
	v_bfe_u32 v226, v65, 16, 1                                 // 000000005FC4: D1C800E2 02052141
	v_add3_u32 v226, v65, v226, v229                           // 000000005FCC: D1FF00E2 0797C541
	v_cndmask_b32_e64 v33, v226, v228, s[74:75]                // 000000005FD4: D1000021 012BC9E2
	v_and_or_b32 v170, v33, v227, v32                          // 000000005FDC: D20100AA 0483C721
	v_cmp_u_f32_e64 s[74:75], v66, v66                         // 000000005FE4: D048004A 00028542
	v_bfe_u32 v226, v66, 16, 1                                 // 000000005FEC: D1C800E2 02052142
	v_add3_u32 v226, v66, v226, v229                           // 000000005FF4: D1FF00E2 0797C542
	v_cndmask_b32_e64 v32, v226, v228, s[74:75]                // 000000005FFC: D1000020 012BC9E2
	v_lshrrev_b32_e32 v32, 16, v32                             // 000000006004: 20404090
	v_cmp_u_f32_e64 s[74:75], v67, v67                         // 000000006008: D048004A 00028743
	v_bfe_u32 v226, v67, 16, 1                                 // 000000006010: D1C800E2 02052143
	v_add3_u32 v226, v67, v226, v229                           // 000000006018: D1FF00E2 0797C543
	v_cndmask_b32_e64 v33, v226, v228, s[74:75]                // 000000006020: D1000021 012BC9E2
	v_and_or_b32 v171, v33, v227, v32                          // 000000006028: D20100AB 0483C721
	v_cmp_u_f32_e64 s[74:75], v68, v68                         // 000000006030: D048004A 00028944
	v_bfe_u32 v226, v68, 16, 1                                 // 000000006038: D1C800E2 02052144
	v_add3_u32 v226, v68, v226, v229                           // 000000006040: D1FF00E2 0797C544
	v_cndmask_b32_e64 v32, v226, v228, s[74:75]                // 000000006048: D1000020 012BC9E2
	v_lshrrev_b32_e32 v32, 16, v32                             // 000000006050: 20404090
	v_cmp_u_f32_e64 s[74:75], v69, v69                         // 000000006054: D048004A 00028B45
	v_bfe_u32 v226, v69, 16, 1                                 // 00000000605C: D1C800E2 02052145
	v_add3_u32 v226, v69, v226, v229                           // 000000006064: D1FF00E2 0797C545
	v_cndmask_b32_e64 v33, v226, v228, s[74:75]                // 00000000606C: D1000021 012BC9E2
	v_and_or_b32 v172, v33, v227, v32                          // 000000006074: D20100AC 0483C721
	v_cmp_u_f32_e64 s[74:75], v70, v70                         // 00000000607C: D048004A 00028D46
	v_bfe_u32 v226, v70, 16, 1                                 // 000000006084: D1C800E2 02052146
	v_add3_u32 v226, v70, v226, v229                           // 00000000608C: D1FF00E2 0797C546
	v_cndmask_b32_e64 v32, v226, v228, s[74:75]                // 000000006094: D1000020 012BC9E2
	v_lshrrev_b32_e32 v32, 16, v32                             // 00000000609C: 20404090
	v_cmp_u_f32_e64 s[74:75], v71, v71                         // 0000000060A0: D048004A 00028F47
	v_bfe_u32 v226, v71, 16, 1                                 // 0000000060A8: D1C800E2 02052147
	v_add3_u32 v226, v71, v226, v229                           // 0000000060B0: D1FF00E2 0797C547
	v_cndmask_b32_e64 v33, v226, v228, s[74:75]                // 0000000060B8: D1000021 012BC9E2
	v_and_or_b32 v173, v33, v227, v32                          // 0000000060C0: D20100AD 0483C721
	v_cmp_u_f32_e64 s[74:75], v72, v72                         // 0000000060C8: D048004A 00029148
	v_bfe_u32 v226, v72, 16, 1                                 // 0000000060D0: D1C800E2 02052148
	v_add3_u32 v226, v72, v226, v229                           // 0000000060D8: D1FF00E2 0797C548
	v_cndmask_b32_e64 v32, v226, v228, s[74:75]                // 0000000060E0: D1000020 012BC9E2
	v_lshrrev_b32_e32 v32, 16, v32                             // 0000000060E8: 20404090
	v_cmp_u_f32_e64 s[74:75], v73, v73                         // 0000000060EC: D048004A 00029349
	v_bfe_u32 v226, v73, 16, 1                                 // 0000000060F4: D1C800E2 02052149
	v_add3_u32 v226, v73, v226, v229                           // 0000000060FC: D1FF00E2 0797C549
	v_cndmask_b32_e64 v33, v226, v228, s[74:75]                // 000000006104: D1000021 012BC9E2
	v_and_or_b32 v174, v33, v227, v32                          // 00000000610C: D20100AE 0483C721
	v_cmp_u_f32_e64 s[74:75], v74, v74                         // 000000006114: D048004A 0002954A
	v_bfe_u32 v226, v74, 16, 1                                 // 00000000611C: D1C800E2 0205214A
	v_add3_u32 v226, v74, v226, v229                           // 000000006124: D1FF00E2 0797C54A
	v_cndmask_b32_e64 v32, v226, v228, s[74:75]                // 00000000612C: D1000020 012BC9E2
	v_lshrrev_b32_e32 v32, 16, v32                             // 000000006134: 20404090
	v_cmp_u_f32_e64 s[74:75], v75, v75                         // 000000006138: D048004A 0002974B
	v_bfe_u32 v226, v75, 16, 1                                 // 000000006140: D1C800E2 0205214B
	v_add3_u32 v226, v75, v226, v229                           // 000000006148: D1FF00E2 0797C54B
	v_cndmask_b32_e64 v33, v226, v228, s[74:75]                // 000000006150: D1000021 012BC9E2
	v_and_or_b32 v175, v33, v227, v32                          // 000000006158: D20100AF 0483C721
	v_mfma_f32_16x16x16_bf16 v[96:99], v[120:121], a[92:93], v[96:99]// 000000006160: D3E10060 1582B978
	v_add_u32_e32 v6, s66, v6                                  // 000000006168: 680C0C42
	v_add_u32_e32 v7, s66, v7                                  // 00000000616C: 680E0E42
	v_add_u32_e32 v8, s66, v8                                  // 000000006170: 68101042
	v_add_u32_e32 v9, s66, v9                                  // 000000006174: 68121242
	v_mfma_f32_16x16x16_bf16 v[96:99], v[122:123], a[94:95], v[96:99]// 000000006178: D3E10060 1582BD7A
	s_waitcnt lgkmcnt(0)                                       // 000000006180: BF8CC07F
	s_barrier                                                  // 000000006184: BF8A0000
	v_mfma_f32_16x16x16_bf16 v[178:181], v[124:125], v[164:165], v[178:181]// 000000006188: D3E100B2 06CB497C
	v_subrev_f32_dpp v76, v176, v76 quad_perm:[0,0,0,0] row_mask:0xf bank_mask:0xf// 000000006190: 069898FA FF0000B0
	v_subrev_f32_dpp v77, v176, v77 quad_perm:[1,1,1,1] row_mask:0xf bank_mask:0xf// 000000006198: 069A9AFA FF0055B0
	v_subrev_f32_dpp v78, v176, v78 quad_perm:[2,2,2,2] row_mask:0xf bank_mask:0xf// 0000000061A0: 069C9CFA FF00AAB0
	v_subrev_f32_dpp v79, v176, v79 quad_perm:[3,3,3,3] row_mask:0xf bank_mask:0xf// 0000000061A8: 069E9EFA FF00FFB0
	v_subrev_f32_dpp v80, v176, v80 quad_perm:[0,0,0,0] row_mask:0xf bank_mask:0xf// 0000000061B0: 06A0A0FA FF0000B0
	v_subrev_f32_dpp v81, v176, v81 quad_perm:[1,1,1,1] row_mask:0xf bank_mask:0xf// 0000000061B8: 06A2A2FA FF0055B0
	v_mfma_f32_16x16x16_bf16 v[182:185], v[126:127], v[164:165], v[182:185]// 0000000061C0: D3E100B6 06DB497E
	v_subrev_f32_dpp v82, v176, v82 quad_perm:[2,2,2,2] row_mask:0xf bank_mask:0xf// 0000000061C8: 06A4A4FA FF00AAB0
	v_subrev_f32_dpp v83, v176, v83 quad_perm:[3,3,3,3] row_mask:0xf bank_mask:0xf// 0000000061D0: 06A6A6FA FF00FFB0
	v_subrev_f32_dpp v84, v176, v84 quad_perm:[0,0,0,0] row_mask:0xf bank_mask:0xf// 0000000061D8: 06A8A8FA FF0000B0
	v_subrev_f32_dpp v85, v176, v85 quad_perm:[1,1,1,1] row_mask:0xf bank_mask:0xf// 0000000061E0: 06AAAAFA FF0055B0
	v_subrev_f32_dpp v86, v176, v86 quad_perm:[2,2,2,2] row_mask:0xf bank_mask:0xf// 0000000061E8: 06ACACFA FF00AAB0
	v_subrev_f32_dpp v87, v176, v87 quad_perm:[3,3,3,3] row_mask:0xf bank_mask:0xf// 0000000061F0: 06AEAEFA FF00FFB0
	v_mfma_f32_16x16x16_bf16 v[186:189], v[128:129], v[164:165], v[186:189]// 0000000061F8: D3E100BA 06EB4980
	v_mul_f32_e32 v76, v52, v76                                // 000000006200: 0A989934
	v_mul_f32_e32 v77, v53, v77                                // 000000006204: 0A9A9B35
	v_mul_f32_e32 v78, v54, v78                                // 000000006208: 0A9C9D36
	v_mul_f32_e32 v79, v55, v79                                // 00000000620C: 0A9E9F37
	v_mul_f32_e32 v80, v56, v80                                // 000000006210: 0AA0A138
	v_mul_f32_e32 v81, v57, v81                                // 000000006214: 0AA2A339
	v_mfma_f32_16x16x16_bf16 v[190:193], v[130:131], v[164:165], v[190:193]// 000000006218: D3E100BE 06FB4982
	v_mul_f32_e32 v82, v58, v82                                // 000000006220: 0AA4A53A
	v_mul_f32_e32 v83, v59, v83                                // 000000006224: 0AA6A73B
	v_mul_f32_e32 v84, v60, v84                                // 000000006228: 0AA8A93C
	v_mul_f32_e32 v85, v61, v85                                // 00000000622C: 0AAAAB3D
	v_mul_f32_e32 v86, v62, v86                                // 000000006230: 0AACAD3E
	v_mul_f32_e32 v87, v63, v87                                // 000000006234: 0AAEAF3F
	v_mfma_f32_16x16x16_bf16 v[194:197], v[124:125], v[166:167], v[194:197]// 000000006238: D3E100C2 070B4D7C
	v_cmp_u_f32_e64 s[74:75], v76, v76                         // 000000006240: D048004A 0002994C
	v_bfe_u32 v226, v76, 16, 1                                 // 000000006248: D1C800E2 0205214C
	v_add3_u32 v226, v76, v226, v229                           // 000000006250: D1FF00E2 0797C54C
	v_cndmask_b32_e64 v32, v226, v228, s[74:75]                // 000000006258: D1000020 012BC9E2
	v_lshrrev_b32_e32 v32, 16, v32                             // 000000006260: 20404090
	v_cmp_u_f32_e64 s[74:75], v77, v77                         // 000000006264: D048004A 00029B4D
	v_bfe_u32 v226, v77, 16, 1                                 // 00000000626C: D1C800E2 0205214D
	v_add3_u32 v226, v77, v226, v229                           // 000000006274: D1FF00E2 0797C54D
	v_cndmask_b32_e64 v33, v226, v228, s[74:75]                // 00000000627C: D1000021 012BC9E2
	v_and_or_b32 v76, v33, v227, v32                           // 000000006284: D201004C 0483C721
	v_cmp_u_f32_e64 s[74:75], v78, v78                         // 00000000628C: D048004A 00029D4E
	v_bfe_u32 v226, v78, 16, 1                                 // 000000006294: D1C800E2 0205214E
	v_add3_u32 v226, v78, v226, v229                           // 00000000629C: D1FF00E2 0797C54E
	v_cndmask_b32_e64 v32, v226, v228, s[74:75]                // 0000000062A4: D1000020 012BC9E2
	v_lshrrev_b32_e32 v32, 16, v32                             // 0000000062AC: 20404090
	v_cmp_u_f32_e64 s[74:75], v79, v79                         // 0000000062B0: D048004A 00029F4F
	v_bfe_u32 v226, v79, 16, 1                                 // 0000000062B8: D1C800E2 0205214F
	v_add3_u32 v226, v79, v226, v229                           // 0000000062C0: D1FF00E2 0797C54F
	v_cndmask_b32_e64 v33, v226, v228, s[74:75]                // 0000000062C8: D1000021 012BC9E2
	v_and_or_b32 v77, v33, v227, v32                           // 0000000062D0: D201004D 0483C721
	v_cmp_u_f32_e64 s[74:75], v80, v80                         // 0000000062D8: D048004A 0002A150
	v_bfe_u32 v226, v80, 16, 1                                 // 0000000062E0: D1C800E2 02052150
	v_add3_u32 v226, v80, v226, v229                           // 0000000062E8: D1FF00E2 0797C550
	v_cndmask_b32_e64 v32, v226, v228, s[74:75]                // 0000000062F0: D1000020 012BC9E2
	v_lshrrev_b32_e32 v32, 16, v32                             // 0000000062F8: 20404090
	v_cmp_u_f32_e64 s[74:75], v81, v81                         // 0000000062FC: D048004A 0002A351
	v_bfe_u32 v226, v81, 16, 1                                 // 000000006304: D1C800E2 02052151
	v_add3_u32 v226, v81, v226, v229                           // 00000000630C: D1FF00E2 0797C551
	v_cndmask_b32_e64 v33, v226, v228, s[74:75]                // 000000006314: D1000021 012BC9E2
	v_and_or_b32 v78, v33, v227, v32                           // 00000000631C: D201004E 0483C721
	v_cmp_u_f32_e64 s[74:75], v82, v82                         // 000000006324: D048004A 0002A552
	v_bfe_u32 v226, v82, 16, 1                                 // 00000000632C: D1C800E2 02052152
	v_add3_u32 v226, v82, v226, v229                           // 000000006334: D1FF00E2 0797C552
	v_cndmask_b32_e64 v32, v226, v228, s[74:75]                // 00000000633C: D1000020 012BC9E2
	v_lshrrev_b32_e32 v32, 16, v32                             // 000000006344: 20404090
	v_cmp_u_f32_e64 s[74:75], v83, v83                         // 000000006348: D048004A 0002A753
	v_bfe_u32 v226, v83, 16, 1                                 // 000000006350: D1C800E2 02052153
	v_add3_u32 v226, v83, v226, v229                           // 000000006358: D1FF00E2 0797C553
	v_cndmask_b32_e64 v33, v226, v228, s[74:75]                // 000000006360: D1000021 012BC9E2
	v_and_or_b32 v79, v33, v227, v32                           // 000000006368: D201004F 0483C721
	v_cmp_u_f32_e64 s[74:75], v84, v84                         // 000000006370: D048004A 0002A954
	v_bfe_u32 v226, v84, 16, 1                                 // 000000006378: D1C800E2 02052154
	v_add3_u32 v226, v84, v226, v229                           // 000000006380: D1FF00E2 0797C554
	v_cndmask_b32_e64 v32, v226, v228, s[74:75]                // 000000006388: D1000020 012BC9E2
	v_lshrrev_b32_e32 v32, 16, v32                             // 000000006390: 20404090
	v_cmp_u_f32_e64 s[74:75], v85, v85                         // 000000006394: D048004A 0002AB55
	v_bfe_u32 v226, v85, 16, 1                                 // 00000000639C: D1C800E2 02052155
	v_add3_u32 v226, v85, v226, v229                           // 0000000063A4: D1FF00E2 0797C555
	v_cndmask_b32_e64 v33, v226, v228, s[74:75]                // 0000000063AC: D1000021 012BC9E2
	v_and_or_b32 v80, v33, v227, v32                           // 0000000063B4: D2010050 0483C721
	v_cmp_u_f32_e64 s[74:75], v86, v86                         // 0000000063BC: D048004A 0002AD56
	v_bfe_u32 v226, v86, 16, 1                                 // 0000000063C4: D1C800E2 02052156
	v_add3_u32 v226, v86, v226, v229                           // 0000000063CC: D1FF00E2 0797C556
	v_cndmask_b32_e64 v32, v226, v228, s[74:75]                // 0000000063D4: D1000020 012BC9E2
	v_lshrrev_b32_e32 v32, 16, v32                             // 0000000063DC: 20404090
	v_cmp_u_f32_e64 s[74:75], v87, v87                         // 0000000063E0: D048004A 0002AF57
	v_bfe_u32 v226, v87, 16, 1                                 // 0000000063E8: D1C800E2 02052157
	v_add3_u32 v226, v87, v226, v229                           // 0000000063F0: D1FF00E2 0797C557
	v_cndmask_b32_e64 v33, v226, v228, s[74:75]                // 0000000063F8: D1000021 012BC9E2
	v_and_or_b32 v81, v33, v227, v32                           // 000000006400: D2010051 0483C721
	v_mfma_f32_16x16x16_bf16 v[198:201], v[126:127], v[166:167], v[198:201]// 000000006408: D3E100C6 071B4D7E
	v_mov_b32_dpp v18, v76 quad_perm:[1,0,3,2] row_mask:0xf bank_mask:0xf// 000000006410: 7E2402FA FF00B14C
	v_perm_b32 v52, v18, v76, v17                              // 000000006418: D1ED0034 04469912
	v_mov_b32_dpp v18, v77 quad_perm:[1,0,3,2] row_mask:0xf bank_mask:0xf// 000000006420: 7E2402FA FF00B14D
	v_perm_b32 v53, v18, v77, v17                              // 000000006428: D1ED0035 04469B12
	v_mov_b32_dpp v18, v78 quad_perm:[1,0,3,2] row_mask:0xf bank_mask:0xf// 000000006430: 7E2402FA FF00B14E
	v_perm_b32 v54, v18, v78, v17                              // 000000006438: D1ED0036 04469D12
	v_mfma_f32_16x16x16_bf16 v[202:205], v[128:129], v[166:167], v[202:205]// 000000006440: D3E100CA 072B4D80
	v_mov_b32_dpp v18, v79 quad_perm:[1,0,3,2] row_mask:0xf bank_mask:0xf// 000000006448: 7E2402FA FF00B14F
	v_perm_b32 v55, v18, v79, v17                              // 000000006450: D1ED0037 04469F12
	v_mov_b32_dpp v18, v80 quad_perm:[1,0,3,2] row_mask:0xf bank_mask:0xf// 000000006458: 7E2402FA FF00B150
	v_perm_b32 v56, v18, v80, v17                              // 000000006460: D1ED0038 0446A112
	v_mov_b32_dpp v18, v81 quad_perm:[1,0,3,2] row_mask:0xf bank_mask:0xf// 000000006468: 7E2402FA FF00B151
	v_perm_b32 v57, v18, v81, v17                              // 000000006470: D1ED0039 0446A312
	v_mfma_f32_16x16x16_bf16 v[206:209], v[130:131], v[166:167], v[206:209]// 000000006478: D3E100CE 073B4D82
	ds_write_b32 v20, v52 offset:17408                         // 000000006480: D81A4400 00003414
	ds_write_b32 v20, v53 offset:17952                         // 000000006488: D81A4620 00003514
	v_mfma_f32_16x16x16_bf16 v[210:213], v[124:125], v[168:169], v[210:213]// 000000006490: D3E100D2 074B517C
	v_subrev_f32_dpp v88, v177, v88 quad_perm:[0,0,0,0] row_mask:0xf bank_mask:0xf// 000000006498: 06B0B0FA FF0000B1
	v_subrev_f32_dpp v89, v177, v89 quad_perm:[1,1,1,1] row_mask:0xf bank_mask:0xf// 0000000064A0: 06B2B2FA FF0055B1
	v_subrev_f32_dpp v90, v177, v90 quad_perm:[2,2,2,2] row_mask:0xf bank_mask:0xf// 0000000064A8: 06B4B4FA FF00AAB1
	v_subrev_f32_dpp v91, v177, v91 quad_perm:[3,3,3,3] row_mask:0xf bank_mask:0xf// 0000000064B0: 06B6B6FA FF00FFB1
	v_subrev_f32_dpp v92, v177, v92 quad_perm:[0,0,0,0] row_mask:0xf bank_mask:0xf// 0000000064B8: 06B8B8FA FF0000B1
	v_subrev_f32_dpp v93, v177, v93 quad_perm:[1,1,1,1] row_mask:0xf bank_mask:0xf// 0000000064C0: 06BABAFA FF0055B1
	v_mfma_f32_16x16x16_bf16 v[214:217], v[126:127], v[168:169], v[214:217]// 0000000064C8: D3E100D6 075B517E
	ds_write_b32 v20, v54 offset:19712                         // 0000000064D0: D81A4D00 00003614
	ds_write_b32 v20, v55 offset:20256                         // 0000000064D8: D81A4F20 00003714
	v_mfma_f32_16x16x16_bf16 v[218:221], v[128:129], v[168:169], v[218:221]// 0000000064E0: D3E100DA 076B5180
	v_subrev_f32_dpp v94, v177, v94 quad_perm:[2,2,2,2] row_mask:0xf bank_mask:0xf// 0000000064E8: 06BCBCFA FF00AAB1
	v_subrev_f32_dpp v95, v177, v95 quad_perm:[3,3,3,3] row_mask:0xf bank_mask:0xf// 0000000064F0: 06BEBEFA FF00FFB1
	v_subrev_f32_dpp v96, v177, v96 quad_perm:[0,0,0,0] row_mask:0xf bank_mask:0xf// 0000000064F8: 06C0C0FA FF0000B1
	v_subrev_f32_dpp v97, v177, v97 quad_perm:[1,1,1,1] row_mask:0xf bank_mask:0xf// 000000006500: 06C2C2FA FF0055B1
	v_subrev_f32_dpp v98, v177, v98 quad_perm:[2,2,2,2] row_mask:0xf bank_mask:0xf// 000000006508: 06C4C4FA FF00AAB1
	v_subrev_f32_dpp v99, v177, v99 quad_perm:[3,3,3,3] row_mask:0xf bank_mask:0xf// 000000006510: 06C6C6FA FF00FFB1
	v_mfma_f32_16x16x16_bf16 v[222:225], v[130:131], v[168:169], v[222:225]// 000000006518: D3E100DE 077B5182
	ds_write_b32 v20, v56 offset:22016                         // 000000006520: D81A5600 00003814
	ds_write_b32 v20, v57 offset:22560                         // 000000006528: D81A5820 00003914
	v_mfma_f32_16x16x16_bf16 v[178:181], v[132:133], v[170:171], v[178:181]// 000000006530: D3E100B2 06CB5584
	v_mul_f32_e32 v88, v64, v88                                // 000000006538: 0AB0B140
	v_mul_f32_e32 v89, v65, v89                                // 00000000653C: 0AB2B341
	v_mul_f32_e32 v90, v66, v90                                // 000000006540: 0AB4B542
	v_mul_f32_e32 v91, v67, v91                                // 000000006544: 0AB6B743
	v_mul_f32_e32 v92, v68, v92                                // 000000006548: 0AB8B944
	v_mul_f32_e32 v93, v69, v93                                // 00000000654C: 0ABABB45
	v_mfma_f32_16x16x16_bf16 v[182:185], v[134:135], v[170:171], v[182:185]// 000000006550: D3E100B6 06DB5586
	v_mul_f32_e32 v94, v70, v94                                // 000000006558: 0ABCBD46
	v_mul_f32_e32 v95, v71, v95                                // 00000000655C: 0ABEBF47
	v_mul_f32_e32 v96, v72, v96                                // 000000006560: 0AC0C148
	v_mul_f32_e32 v97, v73, v97                                // 000000006564: 0AC2C349
	v_mul_f32_e32 v98, v74, v98                                // 000000006568: 0AC4C54A
	v_mul_f32_e32 v99, v75, v99                                // 00000000656C: 0AC6C74B
	v_mfma_f32_16x16x16_bf16 v[186:189], v[136:137], v[170:171], v[186:189]// 000000006570: D3E100BA 06EB5588
	v_cmp_u_f32_e64 s[74:75], v88, v88                         // 000000006578: D048004A 0002B158
	v_bfe_u32 v226, v88, 16, 1                                 // 000000006580: D1C800E2 02052158
	v_add3_u32 v226, v88, v226, v229                           // 000000006588: D1FF00E2 0797C558
	v_cndmask_b32_e64 v32, v226, v228, s[74:75]                // 000000006590: D1000020 012BC9E2
	v_lshrrev_b32_e32 v32, 16, v32                             // 000000006598: 20404090
	v_cmp_u_f32_e64 s[74:75], v89, v89                         // 00000000659C: D048004A 0002B359
	v_bfe_u32 v226, v89, 16, 1                                 // 0000000065A4: D1C800E2 02052159
	v_add3_u32 v226, v89, v226, v229                           // 0000000065AC: D1FF00E2 0797C559
	v_cndmask_b32_e64 v33, v226, v228, s[74:75]                // 0000000065B4: D1000021 012BC9E2
	v_and_or_b32 v82, v33, v227, v32                           // 0000000065BC: D2010052 0483C721
	v_cmp_u_f32_e64 s[74:75], v90, v90                         // 0000000065C4: D048004A 0002B55A
	v_bfe_u32 v226, v90, 16, 1                                 // 0000000065CC: D1C800E2 0205215A
	v_add3_u32 v226, v90, v226, v229                           // 0000000065D4: D1FF00E2 0797C55A
	v_cndmask_b32_e64 v32, v226, v228, s[74:75]                // 0000000065DC: D1000020 012BC9E2
	v_lshrrev_b32_e32 v32, 16, v32                             // 0000000065E4: 20404090
	v_cmp_u_f32_e64 s[74:75], v91, v91                         // 0000000065E8: D048004A 0002B75B
	v_bfe_u32 v226, v91, 16, 1                                 // 0000000065F0: D1C800E2 0205215B
	v_add3_u32 v226, v91, v226, v229                           // 0000000065F8: D1FF00E2 0797C55B
	v_cndmask_b32_e64 v33, v226, v228, s[74:75]                // 000000006600: D1000021 012BC9E2
	v_and_or_b32 v83, v33, v227, v32                           // 000000006608: D2010053 0483C721
	v_cmp_u_f32_e64 s[74:75], v92, v92                         // 000000006610: D048004A 0002B95C
	v_bfe_u32 v226, v92, 16, 1                                 // 000000006618: D1C800E2 0205215C
	v_add3_u32 v226, v92, v226, v229                           // 000000006620: D1FF00E2 0797C55C
	v_cndmask_b32_e64 v32, v226, v228, s[74:75]                // 000000006628: D1000020 012BC9E2
	v_lshrrev_b32_e32 v32, 16, v32                             // 000000006630: 20404090
	v_cmp_u_f32_e64 s[74:75], v93, v93                         // 000000006634: D048004A 0002BB5D
	v_bfe_u32 v226, v93, 16, 1                                 // 00000000663C: D1C800E2 0205215D
	v_add3_u32 v226, v93, v226, v229                           // 000000006644: D1FF00E2 0797C55D
	v_cndmask_b32_e64 v33, v226, v228, s[74:75]                // 00000000664C: D1000021 012BC9E2
	v_and_or_b32 v84, v33, v227, v32                           // 000000006654: D2010054 0483C721
	v_cmp_u_f32_e64 s[74:75], v94, v94                         // 00000000665C: D048004A 0002BD5E
	v_bfe_u32 v226, v94, 16, 1                                 // 000000006664: D1C800E2 0205215E
	v_add3_u32 v226, v94, v226, v229                           // 00000000666C: D1FF00E2 0797C55E
	v_cndmask_b32_e64 v32, v226, v228, s[74:75]                // 000000006674: D1000020 012BC9E2
	v_lshrrev_b32_e32 v32, 16, v32                             // 00000000667C: 20404090
	v_cmp_u_f32_e64 s[74:75], v95, v95                         // 000000006680: D048004A 0002BF5F
	v_bfe_u32 v226, v95, 16, 1                                 // 000000006688: D1C800E2 0205215F
	v_add3_u32 v226, v95, v226, v229                           // 000000006690: D1FF00E2 0797C55F
	v_cndmask_b32_e64 v33, v226, v228, s[74:75]                // 000000006698: D1000021 012BC9E2
	v_and_or_b32 v85, v33, v227, v32                           // 0000000066A0: D2010055 0483C721
	v_cmp_u_f32_e64 s[74:75], v96, v96                         // 0000000066A8: D048004A 0002C160
	v_bfe_u32 v226, v96, 16, 1                                 // 0000000066B0: D1C800E2 02052160
	v_add3_u32 v226, v96, v226, v229                           // 0000000066B8: D1FF00E2 0797C560
	v_cndmask_b32_e64 v32, v226, v228, s[74:75]                // 0000000066C0: D1000020 012BC9E2
	v_lshrrev_b32_e32 v32, 16, v32                             // 0000000066C8: 20404090
	v_cmp_u_f32_e64 s[74:75], v97, v97                         // 0000000066CC: D048004A 0002C361
	v_bfe_u32 v226, v97, 16, 1                                 // 0000000066D4: D1C800E2 02052161
	v_add3_u32 v226, v97, v226, v229                           // 0000000066DC: D1FF00E2 0797C561
	v_cndmask_b32_e64 v33, v226, v228, s[74:75]                // 0000000066E4: D1000021 012BC9E2
	v_and_or_b32 v86, v33, v227, v32                           // 0000000066EC: D2010056 0483C721
	v_cmp_u_f32_e64 s[74:75], v98, v98                         // 0000000066F4: D048004A 0002C562
	v_bfe_u32 v226, v98, 16, 1                                 // 0000000066FC: D1C800E2 02052162
	v_add3_u32 v226, v98, v226, v229                           // 000000006704: D1FF00E2 0797C562
	v_cndmask_b32_e64 v32, v226, v228, s[74:75]                // 00000000670C: D1000020 012BC9E2
	v_lshrrev_b32_e32 v32, 16, v32                             // 000000006714: 20404090
	v_cmp_u_f32_e64 s[74:75], v99, v99                         // 000000006718: D048004A 0002C763
	v_bfe_u32 v226, v99, 16, 1                                 // 000000006720: D1C800E2 02052163
	v_add3_u32 v226, v99, v226, v229                           // 000000006728: D1FF00E2 0797C563
	v_cndmask_b32_e64 v33, v226, v228, s[74:75]                // 000000006730: D1000021 012BC9E2
	v_and_or_b32 v87, v33, v227, v32                           // 000000006738: D2010057 0483C721
	v_mfma_f32_16x16x16_bf16 v[190:193], v[138:139], v[170:171], v[190:193]// 000000006740: D3E100BE 06FB558A
	v_mov_b32_dpp v18, v82 quad_perm:[1,0,3,2] row_mask:0xf bank_mask:0xf// 000000006748: 7E2402FA FF00B152
	v_perm_b32 v58, v18, v82, v17                              // 000000006750: D1ED003A 0446A512
	v_mov_b32_dpp v18, v83 quad_perm:[1,0,3,2] row_mask:0xf bank_mask:0xf// 000000006758: 7E2402FA FF00B153
	v_perm_b32 v59, v18, v83, v17                              // 000000006760: D1ED003B 0446A712
	v_mov_b32_dpp v18, v84 quad_perm:[1,0,3,2] row_mask:0xf bank_mask:0xf// 000000006768: 7E2402FA FF00B154
	v_perm_b32 v60, v18, v84, v17                              // 000000006770: D1ED003C 0446A912
	v_mfma_f32_16x16x16_bf16 v[194:197], v[132:133], v[172:173], v[194:197]// 000000006778: D3E100C2 070B5984
	v_mov_b32_dpp v18, v85 quad_perm:[1,0,3,2] row_mask:0xf bank_mask:0xf// 000000006780: 7E2402FA FF00B155
	v_perm_b32 v61, v18, v85, v17                              // 000000006788: D1ED003D 0446AB12
	v_mov_b32_dpp v18, v86 quad_perm:[1,0,3,2] row_mask:0xf bank_mask:0xf// 000000006790: 7E2402FA FF00B156
	v_perm_b32 v62, v18, v86, v17                              // 000000006798: D1ED003E 0446AD12
	v_mov_b32_dpp v18, v87 quad_perm:[1,0,3,2] row_mask:0xf bank_mask:0xf// 0000000067A0: 7E2402FA FF00B157
	v_perm_b32 v63, v18, v87, v17                              // 0000000067A8: D1ED003F 0446AF12
	v_mfma_f32_16x16x16_bf16 v[198:201], v[134:135], v[172:173], v[198:201]// 0000000067B0: D3E100C6 071B5986
	ds_write_b32 v20, v58 offset:24320                         // 0000000067B8: D81A5F00 00003A14
	ds_write_b32 v20, v59 offset:24864                         // 0000000067C0: D81A6120 00003B14
	v_mfma_f32_16x16x16_bf16 v[202:205], v[136:137], v[172:173], v[202:205]// 0000000067C8: D3E100CA 072B5988
	v_mfma_f32_16x16x16_bf16 v[206:209], v[138:139], v[172:173], v[206:209]// 0000000067D0: D3E100CE 073B598A
	ds_write_b32 v20, v60 offset:26624                         // 0000000067D8: D81A6800 00003C14
	ds_write_b32 v20, v61 offset:27168                         // 0000000067E0: D81A6A20 00003D14
	ds_write_b32 v20, v62 offset:28928                         // 0000000067E8: D81A7100 00003E14
	ds_write_b32 v20, v63 offset:29472                         // 0000000067F0: D81A7320 00003F14
	v_mfma_f32_16x16x16_bf16 v[210:213], v[132:133], v[174:175], v[210:213]// 0000000067F8: D3E100D2 074B5D84
	v_mfma_f32_16x16x16_bf16 v[214:217], v[134:135], v[174:175], v[214:217]// 000000006800: D3E100D6 075B5D86
	ds_write_b32 v15, v100 offset:4352                         // 000000006808: D81A1100 0000640F
	ds_write_b32 v15, v101 offset:5408                         // 000000006810: D81A1520 0000650F
	v_mfma_f32_16x16x16_bf16 v[218:221], v[136:137], v[174:175], v[218:221]// 000000006818: D3E100DA 076B5D88
	s_nop 0                                                    // 000000006820: BF800000
	s_nop 0                                                    // 000000006824: BF800000
	;; [unrolled: 1-line block ×3, first 2 shown]
	v_mfma_f32_16x16x16_bf16 v[222:225], v[138:139], v[174:175], v[222:225]// 00000000682C: D3E100DE 077B5D8A
	ds_write_b32 v15, v102 offset:6528                         // 000000006834: D81A1980 0000660F
	ds_write_b32 v15, v103 offset:7584                         // 00000000683C: D81A1DA0 0000670F
	s_barrier                                                  // 000000006844: BF8A0000
	v_mfma_f32_16x16x16_bf16 a[112:115], a[96:97], v[76:77], a[112:115]// 000000006848: D3E18070 0DC29960
	buffer_atomic_add_f32 v156, v6, s[32:35], 0 idxen          // 000000006850: E1342000 80089C06
	v_mfma_f32_16x16x16_bf16 a[116:119], a[98:99], v[76:77], a[116:119]// 000000006858: D3E18074 0DD29962
	ds_read_b32 v140, v23 offset:39936                         // 000000006860: D86C9C00 8C000017
	ds_read_b32 v144, v23 offset:40000                         // 000000006868: D86C9C40 90000017
	ds_read_b32 v176, v23 offset:40192                         // 000000006870: D86C9D00 B0000017
	ds_read_b32 v177, v23 offset:40256                         // 000000006878: D86C9D40 B1000017
	v_mfma_f32_16x16x16_bf16 a[120:123], a[100:101], v[76:77], a[120:123]// 000000006880: D3E18078 0DE29964
	s_waitcnt lgkmcnt(8)                                       // 000000006888: BF8CC87F
	s_barrier                                                  // 00000000688C: BF8A0000
	v_mfma_f32_16x16x16_bf16 a[124:127], a[102:103], v[76:77], a[124:127]// 000000006890: D3E1807C 0DF29966
	ds_read_b128 v[52:55], v19 offset:17408                    // 000000006898: D9FE4400 34000013
	v_mfma_f32_16x16x16_bf16 a[128:131], a[96:97], v[78:79], a[128:131]// 0000000068A0: D3E18080 0E029D60
	v_mfma_f32_16x16x16_bf16 a[132:135], a[98:99], v[78:79], a[132:135]// 0000000068A8: D3E18084 0E129D62
	ds_read_b128 v[56:59], v19 offset:18560                    // 0000000068B0: D9FE4880 38000013
	v_mfma_f32_16x16x16_bf16 a[136:139], a[100:101], v[78:79], a[136:139]// 0000000068B8: D3E18088 0E229D64
	buffer_atomic_add_f32 v157, v7, s[32:35], 0 idxen          // 0000000068C0: E1342000 80089D07
	v_mfma_f32_16x16x16_bf16 a[140:143], a[102:103], v[78:79], a[140:143]// 0000000068C8: D3E1808C 0E329D66
	ds_read_b128 v[60:63], v19 offset:19712                    // 0000000068D0: D9FE4D00 3C000013
	v_mfma_f32_16x16x16_bf16 a[144:147], a[96:97], v[80:81], a[144:147]// 0000000068D8: D3E18090 0E42A160
	v_mfma_f32_16x16x16_bf16 a[148:151], a[98:99], v[80:81], a[148:151]// 0000000068E0: D3E18094 0E52A162
	ds_read_b128 v[64:67], v19 offset:20864                    // 0000000068E8: D9FE5180 40000013
	v_mfma_f32_16x16x16_bf16 a[152:155], a[100:101], v[80:81], a[152:155]// 0000000068F0: D3E18098 0E62A164
	v_mfma_f32_16x16x16_bf16 a[156:159], a[102:103], v[80:81], a[156:159]// 0000000068F8: D3E1809C 0E72A166
	ds_read_b128 v[68:71], v19 offset:22016                    // 000000006900: D9FE5600 44000013
	v_mfma_f32_16x16x16_bf16 a[112:115], a[104:105], v[82:83], a[112:115]// 000000006908: D3E18070 0DC2A568
	buffer_atomic_add_f32 v158, v6, s[32:35], 0 idxen offset:128// 000000006910: E1342080 80089E06
	v_mfma_f32_16x16x16_bf16 a[116:119], a[106:107], v[82:83], a[116:119]// 000000006918: D3E18074 0DD2A56A
	ds_read_b128 v[72:75], v19 offset:23168                    // 000000006920: D9FE5A80 48000013
	v_mfma_f32_16x16x16_bf16 a[120:123], a[108:109], v[82:83], a[120:123]// 000000006928: D3E18078 0DE2A56C
	v_mfma_f32_16x16x16_bf16 a[124:127], a[110:111], v[82:83], a[124:127]// 000000006930: D3E1807C 0DF2A56E
	ds_write_b32 v15, v104 offset:13056                        // 000000006938: D81A3300 0000680F
	v_mfma_f32_16x16x16_bf16 a[128:131], a[104:105], v[84:85], a[128:131]// 000000006940: D3E18080 0E02A968
	v_mfma_f32_16x16x16_bf16 a[132:135], a[106:107], v[84:85], a[132:135]// 000000006948: D3E18084 0E12A96A
	ds_write_b32 v15, v105 offset:14112                        // 000000006950: D81A3720 0000690F
	v_mfma_f32_16x16x16_bf16 a[136:139], a[108:109], v[84:85], a[136:139]// 000000006958: D3E18088 0E22A96C
	buffer_atomic_add_f32 v159, v7, s[32:35], 0 idxen offset:128// 000000006960: E1342080 80089F07
	v_mfma_f32_16x16x16_bf16 a[140:143], a[110:111], v[84:85], a[140:143]// 000000006968: D3E1808C 0E32A96E
	ds_write_b32 v15, v106 offset:15232                        // 000000006970: D81A3B80 00006A0F
	v_mfma_f32_16x16x16_bf16 a[144:147], a[104:105], v[86:87], a[144:147]// 000000006978: D3E18090 0E42AD68
	v_mfma_f32_16x16x16_bf16 a[148:151], a[106:107], v[86:87], a[148:151]// 000000006980: D3E18094 0E52AD6A
	ds_write_b32 v15, v107 offset:16288                        // 000000006988: D81A3FA0 00006B0F
	v_mfma_f32_16x16x16_bf16 a[152:155], a[108:109], v[86:87], a[152:155]// 000000006990: D3E18098 0E62AD6C
	v_mfma_f32_16x16x16_bf16 a[156:159], a[110:111], v[86:87], a[156:159]// 000000006998: D3E1809C 0E72AD6E
	s_waitcnt vmcnt(8) lgkmcnt(4)                              // 0000000069A0: BF8C0478
	s_barrier                                                  // 0000000069A4: BF8A0000
	v_mfma_f32_16x16x16_bf16 v[148:151], v[52:53], a[24:25], 0 // 0000000069A8: D3E10094 12023134
	v_mul_f32_e32 v140, s48, v140                              // 0000000069B0: 0B191830
	v_mul_f32_e32 v144, s48, v144                              // 0000000069B4: 0B212030
	s_nop 0                                                    // 0000000069B8: BF800000
	v_mfma_f32_16x16x16_bf16 v[148:151], v[54:55], a[28:29], v[148:151]// 0000000069BC: D3E10094 16523936
	ds_read_b128 a[96:99], v12                                 // 0000000069C4: DBFE0000 6000000C
	buffer_load_dword v40, v1, s[8:11], 0 idxen                // 0000000069CC: E0502000 80022801
	v_mfma_f32_16x16x16_bf16 v[148:151], v[56:57], a[32:33], v[148:151]// 0000000069D4: D3E10094 16524138
	v_mfma_f32_16x16x16_bf16 v[148:151], v[58:59], a[36:37], v[148:151]// 0000000069DC: D3E10094 1652493A
	ds_read_b128 a[100:103], v12 offset:512                    // 0000000069E4: DBFE0200 6400000C
	buffer_load_dword v41, v2, s[8:11], 0 idxen                // 0000000069EC: E0502000 80022902
	v_mfma_f32_16x16x16_bf16 v[148:151], v[60:61], a[40:41], v[148:151]// 0000000069F4: D3E10094 1652513C
	v_perm_b32 v100, v37, v36, s63                             // 0000000069FC: D1ED0064 00FE4925
	v_perm_b32 v101, v37, v36, s64                             // 000000006A04: D1ED0065 01024925
	v_mfma_f32_16x16x16_bf16 v[148:151], v[62:63], a[44:45], v[148:151]// 000000006A0C: D3E10094 1652593E
	ds_read_b128 a[104:107], v12 offset:2176                   // 000000006A14: DBFE0880 6800000C
	buffer_load_dword v42, v3, s[8:11], 0 idxen                // 000000006A1C: E0502000 80022A03
	v_mfma_f32_16x16x16_bf16 v[148:151], v[64:65], a[48:49], v[148:151]// 000000006A24: D3E10094 16526140
	v_perm_b32 v102, v39, v38, s63                             // 000000006A2C: D1ED0066 00FE4D27
	v_perm_b32 v103, v39, v38, s64                             // 000000006A34: D1ED0067 01024D27
	v_mfma_f32_16x16x16_bf16 v[148:151], v[66:67], a[52:53], v[148:151]// 000000006A3C: D3E10094 16526942
	ds_read_b128 a[108:111], v12 offset:2688                   // 000000006A44: DBFE0A80 6C00000C
	buffer_load_dword v43, v4, s[8:11], 0 idxen                // 000000006A4C: E0502000 80022B04
	v_mfma_f32_16x16x16_bf16 v[148:151], v[68:69], a[56:57], v[148:151]// 000000006A54: D3E10094 16527144
	v_perm_b32 v104, v45, v44, s63                             // 000000006A5C: D1ED0068 00FE592D
	v_perm_b32 v105, v45, v44, s64                             // 000000006A64: D1ED0069 0102592D
	v_mfma_f32_16x16x16_bf16 v[148:151], v[70:71], a[60:61], v[148:151]// 000000006A6C: D3E10094 16527946
	ds_read_b128 v[108:111], v12 offset:8704                   // 000000006A74: D9FE2200 6C00000C
	buffer_load_dword v48, v231, s[20:23], 0 idxen             // 000000006A7C: E0502000 800530E7
	v_mfma_f32_16x16x16_bf16 v[148:151], v[72:73], a[64:65], v[148:151]// 000000006A84: D3E10094 16528148
	v_perm_b32 v106, v47, v46, s63                             // 000000006A8C: D1ED006A 00FE5D2F
	v_perm_b32 v107, v47, v46, s64                             // 000000006A94: D1ED006B 01025D2F
	v_mfma_f32_16x16x16_bf16 v[148:151], v[74:75], a[68:69], v[148:151]// 000000006A9C: D3E10094 1652894A
	ds_read_b128 v[112:115], v12 offset:9216                   // 000000006AA4: D9FE2400 7000000C
	buffer_load_dword v49, v232, s[20:23], 0 idxen             // 000000006AAC: E0502000 800531E8
	v_mfma_f32_16x16x16_bf16 v[152:155], v[52:53], a[26:27], 0 // 000000006AB4: D3E10098 12023534
	v_mov_b32_dpp v143, v140 quad_perm:[3,3,3,3] row_mask:0xf bank_mask:0xf// 000000006ABC: 7F1E02FA FF00FF8C
	v_mov_b32_dpp v142, v140 quad_perm:[2,2,2,2] row_mask:0xf bank_mask:0xf// 000000006AC4: 7F1C02FA FF00AA8C
	v_mov_b32_dpp v141, v140 quad_perm:[1,1,1,1] row_mask:0xf bank_mask:0xf// 000000006ACC: 7F1A02FA FF00558C
	v_mov_b32_dpp v140, v140 quad_perm:[0,0,0,0] row_mask:0xf bank_mask:0xf// 000000006AD4: 7F1802FA FF00008C
	v_mfma_f32_16x16x16_bf16 v[152:155], v[54:55], a[30:31], v[152:155]// 000000006ADC: D3E10098 16623D36
	ds_read_b128 v[116:119], v12 offset:10880                  // 000000006AE4: D9FE2A80 7400000C
	buffer_load_dword v50, v233, s[20:23], 0 idxen             // 000000006AEC: E0502000 800532E9
	v_mfma_f32_16x16x16_bf16 v[152:155], v[56:57], a[34:35], v[152:155]// 000000006AF4: D3E10098 16624538
	v_mov_b32_dpp v147, v144 quad_perm:[3,3,3,3] row_mask:0xf bank_mask:0xf// 000000006AFC: 7F2602FA FF00FF90
	v_mov_b32_dpp v146, v144 quad_perm:[2,2,2,2] row_mask:0xf bank_mask:0xf// 000000006B04: 7F2402FA FF00AA90
	v_mov_b32_dpp v145, v144 quad_perm:[1,1,1,1] row_mask:0xf bank_mask:0xf// 000000006B0C: 7F2202FA FF005590
	v_mov_b32_dpp v144, v144 quad_perm:[0,0,0,0] row_mask:0xf bank_mask:0xf// 000000006B14: 7F2002FA FF000090
	s_add_u32 s60, 0x80, s59                                   // 000000006B1C: 803C3BFF 00000080
	v_mfma_f32_16x16x16_bf16 v[152:155], v[58:59], a[38:39], v[152:155]// 000000006B24: D3E10098 16624D3A
	ds_read_b128 v[120:123], v12 offset:11392                  // 000000006B2C: D9FE2C80 7800000C
	buffer_load_dword v51, v234, s[20:23], 0 idxen             // 000000006B34: E0502000 800533EA
	v_mfma_f32_16x16x16_bf16 v[152:155], v[60:61], a[42:43], v[152:155]// 000000006B3C: D3E10098 1662553C
	s_cmp_lt_u32 s60, s58                                      // 000000006B44: BF0A3A3C
	s_cselect_b32 s68, s68, 0                                  // 000000006B48: 85448044
	s_cselect_b32 s95, s95, 0                                  // 000000006B4C: 855F805F
	s_cselect_b32 s69, s69, 0                                  // 000000006B50: 85458045
	v_mfma_f32_16x16x16_bf16 v[152:155], v[62:63], a[46:47], v[152:155]// 000000006B54: D3E10098 16625D3E
	buffer_load_dword v11, s[24:27], 0 idxen lds               // 000000006B5C: E0512000 8006000B
	v_mfma_f32_16x16x16_bf16 v[152:155], v[64:65], a[50:51], v[152:155]// 000000006B64: D3E10098 16626540
	v_add_u32_e32 v1, s68, v1                                  // 000000006B6C: 68020244
	v_add_u32_e32 v2, s68, v2                                  // 000000006B70: 68040444
	v_add_u32_e32 v3, s68, v3                                  // 000000006B74: 68060644
	v_add_u32_e32 v4, s68, v4                                  // 000000006B78: 68080844
	v_mfma_f32_16x16x16_bf16 v[152:155], v[66:67], a[54:55], v[152:155]// 000000006B7C: D3E10098 16626D42
	v_add_u32_e32 v231, s95, v231                              // 000000006B84: 69CFCE5F
	v_add_u32_e32 v232, s95, v232                              // 000000006B88: 69D1D05F
	v_add_u32_e32 v233, s95, v233                              // 000000006B8C: 69D3D25F
	v_add_u32_e32 v234, s95, v234                              // 000000006B90: 69D5D45F
	v_mfma_f32_16x16x16_bf16 v[152:155], v[68:69], a[58:59], v[152:155]// 000000006B94: D3E10098 16627544
	s_mov_b32 m0, s76                                          // 000000006B9C: BEFC004C
	v_add_u32_e32 v11, s69, v11                                // 000000006BA0: 68161645
	v_mfma_f32_16x16x16_bf16 v[152:155], v[70:71], a[62:63], v[152:155]// 000000006BA4: D3E10098 16627D46
	s_cmp_ge_u32 s59, 32                                       // 000000006BAC: BF09A03B
	s_cselect_b32 s66, s67, s66                                // 000000006BB0: 85424243
	v_mfma_f32_16x16x16_bf16 v[152:155], v[72:73], a[66:67], v[152:155]// 000000006BB4: D3E10098 16628548
	s_addk_i32 s59, 0x20                                       // 000000006BBC: B73B0020
	s_nop 0                                                    // 000000006BC0: BF800000
	s_cmp_lt_i32 s59, s58                                      // 000000006BC4: BF043A3B
	v_mfma_f32_16x16x16_bf16 v[152:155], v[74:75], a[70:71], v[152:155]// 000000006BC8: D3E10098 16628D4A
	s_cbranch_scc0 label_0FE1                                  // 000000006BD0: BF8404DA
	s_waitcnt lgkmcnt(0)                                       // 000000006BD4: BF8CC07F
	s_barrier                                                  // 000000006BD8: BF8A0000
	v_mfma_f32_16x16x16_bf16 v[52:55], a[96:97], a[0:1], 0     // 000000006BDC: D3E10034 1A020160
	ds_write_b32 v13, v44 offset:8704                          // 000000006BE4: D81A2200 00002C0D
	ds_write_b32 v13, v45 offset:9760                          // 000000006BEC: D81A2620 00002D0D
	v_mfma_f32_16x16x16_bf16 v[52:55], a[98:99], a[2:3], v[52:55]// 000000006BF4: D3E10034 1CD20562
	v_mul_f32_e32 v148, s47, v148                              // 000000006BFC: 0B29282F
	v_mul_f32_e32 v149, s47, v149                              // 000000006C00: 0B2B2A2F
	v_mfma_f32_16x16x16_bf16 v[52:55], a[100:101], a[4:5], v[52:55]// 000000006C04: D3E10034 1CD20964
	ds_write_b32 v13, v46 offset:10880                         // 000000006C0C: D81A2A80 00002E0D
	ds_write_b32 v13, v47 offset:11936                         // 000000006C14: D81A2EA0 00002F0D
	v_mfma_f32_16x16x16_bf16 v[52:55], a[102:103], a[6:7], v[52:55]// 000000006C1C: D3E10034 1CD20D66
	v_mul_f32_e32 v150, s47, v150                              // 000000006C24: 0B2D2C2F
	v_mul_f32_e32 v151, s47, v151                              // 000000006C28: 0B2F2E2F
	v_mfma_f32_16x16x16_bf16 v[56:59], a[96:97], a[8:9], 0     // 000000006C2C: D3E10038 1A021160
	ds_write_b64 v22, v[148:149] offset:31232                  // 000000006C34: D89A7A00 00009416
	v_mfma_f32_16x16x16_bf16 v[56:59], a[98:99], a[10:11], v[56:59]// 000000006C3C: D3E10038 1CE21562
	v_mul_f32_e32 v152, s47, v152                              // 000000006C44: 0B31302F
	v_mul_f32_e32 v153, s47, v153                              // 000000006C48: 0B33322F
	v_mfma_f32_16x16x16_bf16 v[56:59], a[100:101], a[12:13], v[56:59]// 000000006C4C: D3E10038 1CE21964
	ds_write_b64 v22, v[150:151] offset:31744                  // 000000006C54: D89A7C00 00009616
	v_mfma_f32_16x16x16_bf16 v[56:59], a[102:103], a[14:15], v[56:59]// 000000006C5C: D3E10038 1CE21D66
	v_mul_f32_e32 v154, s47, v154                              // 000000006C64: 0B35342F
	v_mul_f32_e32 v155, s47, v155                              // 000000006C68: 0B37362F
	v_mfma_f32_16x16x16_bf16 v[60:63], a[96:97], a[16:17], 0   // 000000006C6C: D3E1003C 1A022160
	ds_write_b64 v22, v[152:153] offset:32256                  // 000000006C74: D89A7E00 00009816
	v_mfma_f32_16x16x16_bf16 v[60:63], a[98:99], a[18:19], v[60:63]// 000000006C7C: D3E1003C 1CF22562
	buffer_atomic_add_f32 v160, v8, s[32:35], 0 idxen          // 000000006C84: E1342000 8008A008
	v_mfma_f32_16x16x16_bf16 v[60:63], a[100:101], a[20:21], v[60:63]// 000000006C8C: D3E1003C 1CF22964
	ds_write_b64 v22, v[154:155] offset:32768                  // 000000006C94: D89A8000 00009A16
	v_mfma_f32_16x16x16_bf16 v[60:63], a[102:103], a[22:23], v[60:63]// 000000006C9C: D3E1003C 1CF22D66
	v_mfma_f32_16x16x16_bf16 v[64:67], a[104:105], a[0:1], 0   // 000000006CA4: D3E10040 1A020168
	ds_read_b128 v[124:127], v14 offset:13056                  // 000000006CAC: D9FE3300 7C00000E
	ds_write_b32 v13, v36                                      // 000000006CB4: D81A0000 0000240D
	v_mfma_f32_16x16x16_bf16 v[64:67], a[106:107], a[2:3], v[64:67]// 000000006CBC: D3E10040 1D02056A
	buffer_atomic_add_f32 v161, v9, s[32:35], 0 idxen          // 000000006CC4: E1342000 8008A109
	v_mfma_f32_16x16x16_bf16 v[64:67], a[108:109], a[4:5], v[64:67]// 000000006CCC: D3E10040 1D02096C
	v_mfma_f32_16x16x16_bf16 v[64:67], a[110:111], a[6:7], v[64:67]// 000000006CD4: D3E10040 1D020D6E
	ds_read_b128 v[128:131], v14 offset:13568                  // 000000006CDC: D9FE3500 8000000E
	ds_write_b32 v13, v37 offset:1056                          // 000000006CE4: D81A0420 0000250D
	v_mfma_f32_16x16x16_bf16 v[68:71], a[104:105], a[8:9], 0   // 000000006CEC: D3E10044 1A021168
	buffer_atomic_add_f32 v162, v8, s[32:35], 0 idxen offset:128// 000000006CF4: E1342080 8008A208
	v_mfma_f32_16x16x16_bf16 v[68:71], a[106:107], a[10:11], v[68:71]// 000000006CFC: D3E10044 1D12156A
	v_mfma_f32_16x16x16_bf16 v[68:71], a[108:109], a[12:13], v[68:71]// 000000006D04: D3E10044 1D12196C
	ds_read_b128 v[132:135], v14 offset:15232                  // 000000006D0C: D9FE3B80 8400000E
	ds_write_b32 v13, v38 offset:2176                          // 000000006D14: D81A0880 0000260D
	v_mfma_f32_16x16x16_bf16 v[68:71], a[110:111], a[14:15], v[68:71]// 000000006D1C: D3E10044 1D121D6E
	v_mfma_f32_16x16x16_bf16 v[72:75], a[104:105], a[16:17], 0 // 000000006D24: D3E10048 1A022168
	buffer_atomic_add_f32 v163, v9, s[32:35], 0 idxen offset:128// 000000006D2C: E1342080 8008A309
	v_mfma_f32_16x16x16_bf16 v[72:75], a[106:107], a[18:19], v[72:75]// 000000006D34: D3E10048 1D22256A
	ds_read_b128 v[136:139], v14 offset:15744                  // 000000006D3C: D9FE3D80 8800000E
	ds_write_b32 v13, v39 offset:3232                          // 000000006D44: D81A0CA0 0000270D
	v_mfma_f32_16x16x16_bf16 v[72:75], a[108:109], a[20:21], v[72:75]// 000000006D4C: D3E10048 1D22296C
	v_mfma_f32_16x16x16_bf16 v[72:75], a[110:111], a[22:23], v[72:75]// 000000006D54: D3E10048 1D222D6E
	s_cmp_lt_i32 s97, 0xc0                                     // 000000006D5C: BF04FF61 000000C0
	s_cbranch_scc0 label_0BD9                                  // 000000006D64: BF84006D
	s_cmp_le_i32 s97, 64                                       // 000000006D68: BF05C061
	s_cbranch_scc1 label_0B6C                                  // 000000006D6C: BF850007
	s_cmp_le_i32 s97, 0x80                                     // 000000006D70: BF05FF61 00000080
	s_cbranch_scc1 label_0B90                                  // 000000006D78: BF85001F
	s_cmp_lt_i32 s97, 0xc0                                     // 000000006D7C: BF04FF61 000000C0
	s_cbranch_scc1 label_0BB4                                  // 000000006D84: BF850040
	s_branch label_0BD9                                        // 000000006D88: BF820064

0000000000006d8c <label_0B6C>:
	s_mov_b32 s60, 0                                           // 000000006D8C: BEBC0080
	v_and_b32_e32 v32, 15, v0                                  // 000000006D90: 2640008F
	v_add_u32_e64 v32, v32, s60                                // 000000006D94: D1340020 00007920
	v_mul_i32_i24_e64 v33, s46, 16                             // 000000006D9C: D1060021 0001202E
	v_add_u32_e32 v32, v32, v33                                // 000000006DA4: 68404320
	v_cmp_lt_u32_e64 s[60:61], v32, s97                        // 000000006DA8: D0C9003C 0000C320
	s_nop 1                                                    // 000000006DB0: BF800001
	v_cndmask_b32_e64 v52, v230, v52, s[60:61]                 // 000000006DB4: D1000034 00F269E6
	v_cndmask_b32_e64 v64, v230, v64, s[60:61]                 // 000000006DBC: D1000040 00F281E6
	v_cndmask_b32_e64 v53, v230, v53, s[60:61]                 // 000000006DC4: D1000035 00F26BE6
	v_cndmask_b32_e64 v65, v230, v65, s[60:61]                 // 000000006DCC: D1000041 00F283E6
	v_cndmask_b32_e64 v54, v230, v54, s[60:61]                 // 000000006DD4: D1000036 00F26DE6
	v_cndmask_b32_e64 v66, v230, v66, s[60:61]                 // 000000006DDC: D1000042 00F285E6
	v_cndmask_b32_e64 v55, v230, v55, s[60:61]                 // 000000006DE4: D1000037 00F26FE6
	v_cndmask_b32_e64 v67, v230, v67, s[60:61]                 // 000000006DEC: D1000043 00F287E6
	s_branch label_0BAB                                        // 000000006DF4: BF82001B

0000000000006df8 <label_0B90>:
	s_mov_b32 s60, 64                                          // 000000006DF8: BEBC00C0
	v_and_b32_e32 v32, 15, v0                                  // 000000006DFC: 2640008F
	v_add_u32_e64 v32, v32, s60                                // 000000006E00: D1340020 00007920
	v_mul_i32_i24_e64 v33, s46, 16                             // 000000006E08: D1060021 0001202E
	v_add_u32_e32 v32, v32, v33                                // 000000006E10: 68404320
	v_cmp_lt_u32_e64 s[60:61], v32, s97                        // 000000006E14: D0C9003C 0000C320
	s_nop 1                                                    // 000000006E1C: BF800001
	v_cndmask_b32_e64 v56, v230, v56, s[60:61]                 // 000000006E20: D1000038 00F271E6
	v_cndmask_b32_e64 v68, v230, v68, s[60:61]                 // 000000006E28: D1000044 00F289E6
	v_cndmask_b32_e64 v57, v230, v57, s[60:61]                 // 000000006E30: D1000039 00F273E6
	v_cndmask_b32_e64 v69, v230, v69, s[60:61]                 // 000000006E38: D1000045 00F28BE6
	v_cndmask_b32_e64 v58, v230, v58, s[60:61]                 // 000000006E40: D100003A 00F275E6
	v_cndmask_b32_e64 v70, v230, v70, s[60:61]                 // 000000006E48: D1000046 00F28DE6
	v_cndmask_b32_e64 v59, v230, v59, s[60:61]                 // 000000006E50: D100003B 00F277E6
	v_cndmask_b32_e64 v71, v230, v71, s[60:61]                 // 000000006E58: D1000047 00F28FE6
	s_branch label_0BD0                                        // 000000006E60: BF820025

0000000000006e64 <label_0BAB>:
	v_mov_b32_e32 v56, v230                                    // 000000006E64: 7E7003E6
	v_mov_b32_e32 v68, v230                                    // 000000006E68: 7E8803E6
	v_mov_b32_e32 v57, v230                                    // 000000006E6C: 7E7203E6
	v_mov_b32_e32 v69, v230                                    // 000000006E70: 7E8A03E6
	v_mov_b32_e32 v58, v230                                    // 000000006E74: 7E7403E6
	v_mov_b32_e32 v70, v230                                    // 000000006E78: 7E8C03E6
	v_mov_b32_e32 v59, v230                                    // 000000006E7C: 7E7603E6
	v_mov_b32_e32 v71, v230                                    // 000000006E80: 7E8E03E6
	s_branch label_0BD0                                        // 000000006E84: BF82001C

0000000000006e88 <label_0BB4>:
	s_mov_b32 s60, 0x80                                        // 000000006E88: BEBC00FF 00000080
	v_and_b32_e32 v32, 15, v0                                  // 000000006E90: 2640008F
	v_add_u32_e64 v32, v32, s60                                // 000000006E94: D1340020 00007920
	v_mul_i32_i24_e64 v33, s46, 16                             // 000000006E9C: D1060021 0001202E
	v_add_u32_e32 v32, v32, v33                                // 000000006EA4: 68404320
	v_cmp_lt_u32_e64 s[60:61], v32, s97                        // 000000006EA8: D0C9003C 0000C320
	s_nop 1                                                    // 000000006EB0: BF800001
	v_cndmask_b32_e64 v60, v230, v60, s[60:61]                 // 000000006EB4: D100003C 00F279E6
	v_cndmask_b32_e64 v72, v230, v72, s[60:61]                 // 000000006EBC: D1000048 00F291E6
	v_cndmask_b32_e64 v61, v230, v61, s[60:61]                 // 000000006EC4: D100003D 00F27BE6
	v_cndmask_b32_e64 v73, v230, v73, s[60:61]                 // 000000006ECC: D1000049 00F293E6
	v_cndmask_b32_e64 v62, v230, v62, s[60:61]                 // 000000006ED4: D100003E 00F27DE6
	v_cndmask_b32_e64 v74, v230, v74, s[60:61]                 // 000000006EDC: D100004A 00F295E6
	v_cndmask_b32_e64 v63, v230, v63, s[60:61]                 // 000000006EE4: D100003F 00F27FE6
	v_cndmask_b32_e64 v75, v230, v75, s[60:61]                 // 000000006EEC: D100004B 00F297E6
	s_branch label_0BD9                                        // 000000006EF4: BF820009

0000000000006ef8 <label_0BD0>:
	v_mov_b32_e32 v60, v230                                    // 000000006EF8: 7E7803E6
	v_mov_b32_e32 v72, v230                                    // 000000006EFC: 7E9003E6
	v_mov_b32_e32 v61, v230                                    // 000000006F00: 7E7A03E6
	v_mov_b32_e32 v73, v230                                    // 000000006F04: 7E9203E6
	v_mov_b32_e32 v62, v230                                    // 000000006F08: 7E7C03E6
	v_mov_b32_e32 v74, v230                                    // 000000006F0C: 7E9403E6
	v_mov_b32_e32 v63, v230                                    // 000000006F10: 7E7E03E6
	v_mov_b32_e32 v75, v230                                    // 000000006F14: 7E9603E6
	s_branch label_0BD9                                        // 000000006F18: BF820000

0000000000006f1c <label_0BD9>:
	s_waitcnt lgkmcnt(8)                                       // 000000006F1C: BF8CC87F
	s_barrier                                                  // 000000006F20: BF8A0000
	v_mfma_f32_16x16x16_bf16 v[76:79], v[108:109], a[72:73], 0 // 000000006F24: D3E1004C 1202916C
	ds_read_b128 a[96:99], v14 offset:4352                     // 000000006F2C: DBFE1100 6000000E
	ds_read_b128 a[100:103], v14 offset:4864                   // 000000006F34: DBFE1300 6400000E
	v_mfma_f32_16x16x16_bf16 v[76:79], v[110:111], a[74:75], v[76:79]// 000000006F3C: D3E1004C 1532956E
	v_fma_f32 v52, v52, s57, -v140                             // 000000006F44: D1CB0034 86307334
	v_fma_f32 v53, v53, s57, -v141                             // 000000006F4C: D1CB0035 86347335
	v_fma_f32 v54, v54, s57, -v142                             // 000000006F54: D1CB0036 86387336
	v_fma_f32 v55, v55, s57, -v143                             // 000000006F5C: D1CB0037 863C7337
	v_fma_f32 v56, v56, s57, -v140                             // 000000006F64: D1CB0038 86307338
	v_fma_f32 v57, v57, s57, -v141                             // 000000006F6C: D1CB0039 86347339
	v_mfma_f32_16x16x16_bf16 v[76:79], v[112:113], a[76:77], v[76:79]// 000000006F74: D3E1004C 15329970
	v_fma_f32 v58, v58, s57, -v142                             // 000000006F7C: D1CB003A 8638733A
	v_fma_f32 v59, v59, s57, -v143                             // 000000006F84: D1CB003B 863C733B
	v_fma_f32 v60, v60, s57, -v140                             // 000000006F8C: D1CB003C 8630733C
	v_fma_f32 v61, v61, s57, -v141                             // 000000006F94: D1CB003D 8634733D
	v_fma_f32 v62, v62, s57, -v142                             // 000000006F9C: D1CB003E 8638733E
	v_fma_f32 v63, v63, s57, -v143                             // 000000006FA4: D1CB003F 863C733F
	v_mfma_f32_16x16x16_bf16 v[76:79], v[114:115], a[78:79], v[76:79]// 000000006FAC: D3E1004C 15329D72
	v_fma_f32 v64, v64, s57, -v144                             // 000000006FB4: D1CB0040 86407340
	v_fma_f32 v65, v65, s57, -v145                             // 000000006FBC: D1CB0041 86447341
	v_fma_f32 v66, v66, s57, -v146                             // 000000006FC4: D1CB0042 86487342
	v_fma_f32 v67, v67, s57, -v147                             // 000000006FCC: D1CB0043 864C7343
	v_fma_f32 v68, v68, s57, -v144                             // 000000006FD4: D1CB0044 86407344
	v_fma_f32 v69, v69, s57, -v145                             // 000000006FDC: D1CB0045 86447345
	v_mfma_f32_16x16x16_bf16 v[80:83], v[108:109], a[80:81], 0 // 000000006FE4: D3E10050 1202A16C
	ds_read_b128 a[104:107], v14 offset:6528                   // 000000006FEC: DBFE1980 6800000E
	ds_read_b128 a[108:111], v14 offset:7040                   // 000000006FF4: DBFE1B80 6C00000E
	v_mfma_f32_16x16x16_bf16 v[80:83], v[110:111], a[82:83], v[80:83]// 000000006FFC: D3E10050 1542A56E
	v_fma_f32 v70, v70, s57, -v146                             // 000000007004: D1CB0046 86487346
	v_fma_f32 v71, v71, s57, -v147                             // 00000000700C: D1CB0047 864C7347
	v_fma_f32 v72, v72, s57, -v144                             // 000000007014: D1CB0048 86407348
	v_fma_f32 v73, v73, s57, -v145                             // 00000000701C: D1CB0049 86447349
	v_fma_f32 v74, v74, s57, -v146                             // 000000007024: D1CB004A 8648734A
	v_fma_f32 v75, v75, s57, -v147                             // 00000000702C: D1CB004B 864C734B
	v_mfma_f32_16x16x16_bf16 v[80:83], v[112:113], a[84:85], v[80:83]// 000000007034: D3E10050 1542A970
	v_exp_f32_e32 v52, v52                                     // 00000000703C: 7E684134
	v_exp_f32_e32 v53, v53                                     // 000000007040: 7E6A4135
	v_mfma_f32_16x16x16_bf16 v[80:83], v[114:115], a[86:87], v[80:83]// 000000007044: D3E10050 1542AD72
	v_exp_f32_e32 v54, v54                                     // 00000000704C: 7E6C4136
	v_exp_f32_e32 v55, v55                                     // 000000007050: 7E6E4137
	v_mfma_f32_16x16x16_bf16 v[84:87], v[108:109], a[88:89], 0 // 000000007054: D3E10054 1202B16C
	ds_read_b64 v[156:157], v21 offset:31232                   // 00000000705C: D8EC7A00 9C000015
	ds_read_b64 v[158:159], v21 offset:33280                   // 000000007064: D8EC8200 9E000015
	v_mfma_f32_16x16x16_bf16 v[84:87], v[110:111], a[90:91], v[84:87]// 00000000706C: D3E10054 1552B56E
	v_exp_f32_e32 v56, v56                                     // 000000007074: 7E704138
	v_exp_f32_e32 v57, v57                                     // 000000007078: 7E724139
	v_mfma_f32_16x16x16_bf16 v[84:87], v[112:113], a[92:93], v[84:87]// 00000000707C: D3E10054 1552B970
	ds_read_b64 v[160:161], v21 offset:35328                   // 000000007084: D8EC8A00 A0000015
	ds_read_b64 v[162:163], v21 offset:37376                   // 00000000708C: D8EC9200 A2000015
	v_mfma_f32_16x16x16_bf16 v[84:87], v[114:115], a[94:95], v[84:87]// 000000007094: D3E10054 1552BD72
	v_exp_f32_e32 v58, v58                                     // 00000000709C: 7E74413A
	v_exp_f32_e32 v59, v59                                     // 0000000070A0: 7E76413B
	v_mfma_f32_16x16x16_bf16 v[88:91], v[116:117], a[72:73], 0 // 0000000070A4: D3E10058 12029174
	v_exp_f32_e32 v60, v60                                     // 0000000070AC: 7E78413C
	v_exp_f32_e32 v61, v61                                     // 0000000070B0: 7E7A413D
	v_mfma_f32_16x16x16_bf16 v[88:91], v[118:119], a[74:75], v[88:91]// 0000000070B4: D3E10058 15629576
	v_exp_f32_e32 v62, v62                                     // 0000000070BC: 7E7C413E
	v_exp_f32_e32 v63, v63                                     // 0000000070C0: 7E7E413F
	v_mfma_f32_16x16x16_bf16 v[88:91], v[120:121], a[76:77], v[88:91]// 0000000070C4: D3E10058 15629978
	v_exp_f32_e32 v64, v64                                     // 0000000070CC: 7E804140
	v_exp_f32_e32 v65, v65                                     // 0000000070D0: 7E824141
	v_mfma_f32_16x16x16_bf16 v[88:91], v[122:123], a[78:79], v[88:91]// 0000000070D4: D3E10058 15629D7A
	v_exp_f32_e32 v66, v66                                     // 0000000070DC: 7E844142
	v_exp_f32_e32 v67, v67                                     // 0000000070E0: 7E864143
	v_mfma_f32_16x16x16_bf16 v[92:95], v[116:117], a[80:81], 0 // 0000000070E4: D3E1005C 1202A174
	v_exp_f32_e32 v68, v68                                     // 0000000070EC: 7E884144
	v_exp_f32_e32 v69, v69                                     // 0000000070F0: 7E8A4145
	v_mfma_f32_16x16x16_bf16 v[92:95], v[118:119], a[82:83], v[92:95]// 0000000070F4: D3E1005C 1572A576
	v_exp_f32_e32 v70, v70                                     // 0000000070FC: 7E8C4146
	v_exp_f32_e32 v71, v71                                     // 000000007100: 7E8E4147
	v_mfma_f32_16x16x16_bf16 v[92:95], v[120:121], a[84:85], v[92:95]// 000000007104: D3E1005C 1572A978
	v_exp_f32_e32 v72, v72                                     // 00000000710C: 7E904148
	v_exp_f32_e32 v73, v73                                     // 000000007110: 7E924149
	v_mfma_f32_16x16x16_bf16 v[92:95], v[122:123], a[86:87], v[92:95]// 000000007114: D3E1005C 1572AD7A
	v_exp_f32_e32 v74, v74                                     // 00000000711C: 7E94414A
	v_exp_f32_e32 v75, v75                                     // 000000007120: 7E96414B
	v_mfma_f32_16x16x16_bf16 v[96:99], v[116:117], a[88:89], 0 // 000000007124: D3E10060 1202B174
	v_cmp_u_f32_e64 s[74:75], v52, v52                         // 00000000712C: D048004A 00026934
	v_bfe_u32 v226, v52, 16, 1                                 // 000000007134: D1C800E2 02052134
	v_add3_u32 v226, v52, v226, v229                           // 00000000713C: D1FF00E2 0797C534
	v_cndmask_b32_e64 v32, v226, v228, s[74:75]                // 000000007144: D1000020 012BC9E2
	v_lshrrev_b32_e32 v32, 16, v32                             // 00000000714C: 20404090
	v_cmp_u_f32_e64 s[74:75], v53, v53                         // 000000007150: D048004A 00026B35
	v_bfe_u32 v226, v53, 16, 1                                 // 000000007158: D1C800E2 02052135
	v_add3_u32 v226, v53, v226, v229                           // 000000007160: D1FF00E2 0797C535
	v_cndmask_b32_e64 v33, v226, v228, s[74:75]                // 000000007168: D1000021 012BC9E2
	v_and_or_b32 v164, v33, v227, v32                          // 000000007170: D20100A4 0483C721
	v_cmp_u_f32_e64 s[74:75], v54, v54                         // 000000007178: D048004A 00026D36
	v_bfe_u32 v226, v54, 16, 1                                 // 000000007180: D1C800E2 02052136
	v_add3_u32 v226, v54, v226, v229                           // 000000007188: D1FF00E2 0797C536
	v_cndmask_b32_e64 v32, v226, v228, s[74:75]                // 000000007190: D1000020 012BC9E2
	v_lshrrev_b32_e32 v32, 16, v32                             // 000000007198: 20404090
	v_cmp_u_f32_e64 s[74:75], v55, v55                         // 00000000719C: D048004A 00026F37
	v_bfe_u32 v226, v55, 16, 1                                 // 0000000071A4: D1C800E2 02052137
	v_add3_u32 v226, v55, v226, v229                           // 0000000071AC: D1FF00E2 0797C537
	v_cndmask_b32_e64 v33, v226, v228, s[74:75]                // 0000000071B4: D1000021 012BC9E2
	v_and_or_b32 v165, v33, v227, v32                          // 0000000071BC: D20100A5 0483C721
	v_cmp_u_f32_e64 s[74:75], v56, v56                         // 0000000071C4: D048004A 00027138
	v_bfe_u32 v226, v56, 16, 1                                 // 0000000071CC: D1C800E2 02052138
	v_add3_u32 v226, v56, v226, v229                           // 0000000071D4: D1FF00E2 0797C538
	v_cndmask_b32_e64 v32, v226, v228, s[74:75]                // 0000000071DC: D1000020 012BC9E2
	v_lshrrev_b32_e32 v32, 16, v32                             // 0000000071E4: 20404090
	v_cmp_u_f32_e64 s[74:75], v57, v57                         // 0000000071E8: D048004A 00027339
	v_bfe_u32 v226, v57, 16, 1                                 // 0000000071F0: D1C800E2 02052139
	v_add3_u32 v226, v57, v226, v229                           // 0000000071F8: D1FF00E2 0797C539
	v_cndmask_b32_e64 v33, v226, v228, s[74:75]                // 000000007200: D1000021 012BC9E2
	v_and_or_b32 v166, v33, v227, v32                          // 000000007208: D20100A6 0483C721
	v_cmp_u_f32_e64 s[74:75], v58, v58                         // 000000007210: D048004A 0002753A
	v_bfe_u32 v226, v58, 16, 1                                 // 000000007218: D1C800E2 0205213A
	v_add3_u32 v226, v58, v226, v229                           // 000000007220: D1FF00E2 0797C53A
	v_cndmask_b32_e64 v32, v226, v228, s[74:75]                // 000000007228: D1000020 012BC9E2
	v_lshrrev_b32_e32 v32, 16, v32                             // 000000007230: 20404090
	v_cmp_u_f32_e64 s[74:75], v59, v59                         // 000000007234: D048004A 0002773B
	v_bfe_u32 v226, v59, 16, 1                                 // 00000000723C: D1C800E2 0205213B
	v_add3_u32 v226, v59, v226, v229                           // 000000007244: D1FF00E2 0797C53B
	v_cndmask_b32_e64 v33, v226, v228, s[74:75]                // 00000000724C: D1000021 012BC9E2
	v_and_or_b32 v167, v33, v227, v32                          // 000000007254: D20100A7 0483C721
	v_cmp_u_f32_e64 s[74:75], v60, v60                         // 00000000725C: D048004A 0002793C
	v_bfe_u32 v226, v60, 16, 1                                 // 000000007264: D1C800E2 0205213C
	v_add3_u32 v226, v60, v226, v229                           // 00000000726C: D1FF00E2 0797C53C
	v_cndmask_b32_e64 v32, v226, v228, s[74:75]                // 000000007274: D1000020 012BC9E2
	v_lshrrev_b32_e32 v32, 16, v32                             // 00000000727C: 20404090
	v_cmp_u_f32_e64 s[74:75], v61, v61                         // 000000007280: D048004A 00027B3D
	v_bfe_u32 v226, v61, 16, 1                                 // 000000007288: D1C800E2 0205213D
	v_add3_u32 v226, v61, v226, v229                           // 000000007290: D1FF00E2 0797C53D
	v_cndmask_b32_e64 v33, v226, v228, s[74:75]                // 000000007298: D1000021 012BC9E2
	v_and_or_b32 v168, v33, v227, v32                          // 0000000072A0: D20100A8 0483C721
	v_cmp_u_f32_e64 s[74:75], v62, v62                         // 0000000072A8: D048004A 00027D3E
	v_bfe_u32 v226, v62, 16, 1                                 // 0000000072B0: D1C800E2 0205213E
	v_add3_u32 v226, v62, v226, v229                           // 0000000072B8: D1FF00E2 0797C53E
	v_cndmask_b32_e64 v32, v226, v228, s[74:75]                // 0000000072C0: D1000020 012BC9E2
	v_lshrrev_b32_e32 v32, 16, v32                             // 0000000072C8: 20404090
	v_cmp_u_f32_e64 s[74:75], v63, v63                         // 0000000072CC: D048004A 00027F3F
	v_bfe_u32 v226, v63, 16, 1                                 // 0000000072D4: D1C800E2 0205213F
	v_add3_u32 v226, v63, v226, v229                           // 0000000072DC: D1FF00E2 0797C53F
	v_cndmask_b32_e64 v33, v226, v228, s[74:75]                // 0000000072E4: D1000021 012BC9E2
	v_and_or_b32 v169, v33, v227, v32                          // 0000000072EC: D20100A9 0483C721
	v_mfma_f32_16x16x16_bf16 v[96:99], v[118:119], a[90:91], v[96:99]// 0000000072F4: D3E10060 1582B576
	v_cmp_u_f32_e64 s[74:75], v64, v64                         // 0000000072FC: D048004A 00028140
	v_bfe_u32 v226, v64, 16, 1                                 // 000000007304: D1C800E2 02052140
	v_add3_u32 v226, v64, v226, v229                           // 00000000730C: D1FF00E2 0797C540
	v_cndmask_b32_e64 v32, v226, v228, s[74:75]                // 000000007314: D1000020 012BC9E2
	v_lshrrev_b32_e32 v32, 16, v32                             // 00000000731C: 20404090
	v_cmp_u_f32_e64 s[74:75], v65, v65                         // 000000007320: D048004A 00028341
	v_bfe_u32 v226, v65, 16, 1                                 // 000000007328: D1C800E2 02052141
	v_add3_u32 v226, v65, v226, v229                           // 000000007330: D1FF00E2 0797C541
	v_cndmask_b32_e64 v33, v226, v228, s[74:75]                // 000000007338: D1000021 012BC9E2
	v_and_or_b32 v170, v33, v227, v32                          // 000000007340: D20100AA 0483C721
	v_cmp_u_f32_e64 s[74:75], v66, v66                         // 000000007348: D048004A 00028542
	v_bfe_u32 v226, v66, 16, 1                                 // 000000007350: D1C800E2 02052142
	v_add3_u32 v226, v66, v226, v229                           // 000000007358: D1FF00E2 0797C542
	v_cndmask_b32_e64 v32, v226, v228, s[74:75]                // 000000007360: D1000020 012BC9E2
	v_lshrrev_b32_e32 v32, 16, v32                             // 000000007368: 20404090
	v_cmp_u_f32_e64 s[74:75], v67, v67                         // 00000000736C: D048004A 00028743
	v_bfe_u32 v226, v67, 16, 1                                 // 000000007374: D1C800E2 02052143
	v_add3_u32 v226, v67, v226, v229                           // 00000000737C: D1FF00E2 0797C543
	v_cndmask_b32_e64 v33, v226, v228, s[74:75]                // 000000007384: D1000021 012BC9E2
	v_and_or_b32 v171, v33, v227, v32                          // 00000000738C: D20100AB 0483C721
	v_cmp_u_f32_e64 s[74:75], v68, v68                         // 000000007394: D048004A 00028944
	v_bfe_u32 v226, v68, 16, 1                                 // 00000000739C: D1C800E2 02052144
	v_add3_u32 v226, v68, v226, v229                           // 0000000073A4: D1FF00E2 0797C544
	v_cndmask_b32_e64 v32, v226, v228, s[74:75]                // 0000000073AC: D1000020 012BC9E2
	v_lshrrev_b32_e32 v32, 16, v32                             // 0000000073B4: 20404090
	v_cmp_u_f32_e64 s[74:75], v69, v69                         // 0000000073B8: D048004A 00028B45
	v_bfe_u32 v226, v69, 16, 1                                 // 0000000073C0: D1C800E2 02052145
	v_add3_u32 v226, v69, v226, v229                           // 0000000073C8: D1FF00E2 0797C545
	v_cndmask_b32_e64 v33, v226, v228, s[74:75]                // 0000000073D0: D1000021 012BC9E2
	v_and_or_b32 v172, v33, v227, v32                          // 0000000073D8: D20100AC 0483C721
	v_cmp_u_f32_e64 s[74:75], v70, v70                         // 0000000073E0: D048004A 00028D46
	v_bfe_u32 v226, v70, 16, 1                                 // 0000000073E8: D1C800E2 02052146
	v_add3_u32 v226, v70, v226, v229                           // 0000000073F0: D1FF00E2 0797C546
	v_cndmask_b32_e64 v32, v226, v228, s[74:75]                // 0000000073F8: D1000020 012BC9E2
	v_lshrrev_b32_e32 v32, 16, v32                             // 000000007400: 20404090
	v_cmp_u_f32_e64 s[74:75], v71, v71                         // 000000007404: D048004A 00028F47
	v_bfe_u32 v226, v71, 16, 1                                 // 00000000740C: D1C800E2 02052147
	v_add3_u32 v226, v71, v226, v229                           // 000000007414: D1FF00E2 0797C547
	v_cndmask_b32_e64 v33, v226, v228, s[74:75]                // 00000000741C: D1000021 012BC9E2
	v_and_or_b32 v173, v33, v227, v32                          // 000000007424: D20100AD 0483C721
	v_cmp_u_f32_e64 s[74:75], v72, v72                         // 00000000742C: D048004A 00029148
	v_bfe_u32 v226, v72, 16, 1                                 // 000000007434: D1C800E2 02052148
	v_add3_u32 v226, v72, v226, v229                           // 00000000743C: D1FF00E2 0797C548
	v_cndmask_b32_e64 v32, v226, v228, s[74:75]                // 000000007444: D1000020 012BC9E2
	v_lshrrev_b32_e32 v32, 16, v32                             // 00000000744C: 20404090
	v_cmp_u_f32_e64 s[74:75], v73, v73                         // 000000007450: D048004A 00029349
	v_bfe_u32 v226, v73, 16, 1                                 // 000000007458: D1C800E2 02052149
	v_add3_u32 v226, v73, v226, v229                           // 000000007460: D1FF00E2 0797C549
	v_cndmask_b32_e64 v33, v226, v228, s[74:75]                // 000000007468: D1000021 012BC9E2
	v_and_or_b32 v174, v33, v227, v32                          // 000000007470: D20100AE 0483C721
	v_cmp_u_f32_e64 s[74:75], v74, v74                         // 000000007478: D048004A 0002954A
	v_bfe_u32 v226, v74, 16, 1                                 // 000000007480: D1C800E2 0205214A
	v_add3_u32 v226, v74, v226, v229                           // 000000007488: D1FF00E2 0797C54A
	v_cndmask_b32_e64 v32, v226, v228, s[74:75]                // 000000007490: D1000020 012BC9E2
	v_lshrrev_b32_e32 v32, 16, v32                             // 000000007498: 20404090
	v_cmp_u_f32_e64 s[74:75], v75, v75                         // 00000000749C: D048004A 0002974B
	v_bfe_u32 v226, v75, 16, 1                                 // 0000000074A4: D1C800E2 0205214B
	v_add3_u32 v226, v75, v226, v229                           // 0000000074AC: D1FF00E2 0797C54B
	v_cndmask_b32_e64 v33, v226, v228, s[74:75]                // 0000000074B4: D1000021 012BC9E2
	v_and_or_b32 v175, v33, v227, v32                          // 0000000074BC: D20100AF 0483C721
	v_mfma_f32_16x16x16_bf16 v[96:99], v[120:121], a[92:93], v[96:99]// 0000000074C4: D3E10060 1582B978
	v_add_u32_e32 v6, s66, v6                                  // 0000000074CC: 680C0C42
	v_add_u32_e32 v7, s66, v7                                  // 0000000074D0: 680E0E42
	v_add_u32_e32 v8, s66, v8                                  // 0000000074D4: 68101042
	v_add_u32_e32 v9, s66, v9                                  // 0000000074D8: 68121242
	v_mfma_f32_16x16x16_bf16 v[96:99], v[122:123], a[94:95], v[96:99]// 0000000074DC: D3E10060 1582BD7A
	s_waitcnt lgkmcnt(0)                                       // 0000000074E4: BF8CC07F
	s_barrier                                                  // 0000000074E8: BF8A0000
	v_mfma_f32_16x16x16_bf16 v[178:181], v[124:125], v[164:165], v[178:181]// 0000000074EC: D3E100B2 06CB497C
	v_subrev_f32_dpp v76, v176, v76 quad_perm:[0,0,0,0] row_mask:0xf bank_mask:0xf// 0000000074F4: 069898FA FF0000B0
	v_subrev_f32_dpp v77, v176, v77 quad_perm:[1,1,1,1] row_mask:0xf bank_mask:0xf// 0000000074FC: 069A9AFA FF0055B0
	v_subrev_f32_dpp v78, v176, v78 quad_perm:[2,2,2,2] row_mask:0xf bank_mask:0xf// 000000007504: 069C9CFA FF00AAB0
	v_subrev_f32_dpp v79, v176, v79 quad_perm:[3,3,3,3] row_mask:0xf bank_mask:0xf// 00000000750C: 069E9EFA FF00FFB0
	v_subrev_f32_dpp v80, v176, v80 quad_perm:[0,0,0,0] row_mask:0xf bank_mask:0xf// 000000007514: 06A0A0FA FF0000B0
	v_subrev_f32_dpp v81, v176, v81 quad_perm:[1,1,1,1] row_mask:0xf bank_mask:0xf// 00000000751C: 06A2A2FA FF0055B0
	v_mfma_f32_16x16x16_bf16 v[182:185], v[126:127], v[164:165], v[182:185]// 000000007524: D3E100B6 06DB497E
	v_subrev_f32_dpp v82, v176, v82 quad_perm:[2,2,2,2] row_mask:0xf bank_mask:0xf// 00000000752C: 06A4A4FA FF00AAB0
	v_subrev_f32_dpp v83, v176, v83 quad_perm:[3,3,3,3] row_mask:0xf bank_mask:0xf// 000000007534: 06A6A6FA FF00FFB0
	v_subrev_f32_dpp v84, v176, v84 quad_perm:[0,0,0,0] row_mask:0xf bank_mask:0xf// 00000000753C: 06A8A8FA FF0000B0
	v_subrev_f32_dpp v85, v176, v85 quad_perm:[1,1,1,1] row_mask:0xf bank_mask:0xf// 000000007544: 06AAAAFA FF0055B0
	v_subrev_f32_dpp v86, v176, v86 quad_perm:[2,2,2,2] row_mask:0xf bank_mask:0xf// 00000000754C: 06ACACFA FF00AAB0
	v_subrev_f32_dpp v87, v176, v87 quad_perm:[3,3,3,3] row_mask:0xf bank_mask:0xf// 000000007554: 06AEAEFA FF00FFB0
	v_mfma_f32_16x16x16_bf16 v[186:189], v[128:129], v[164:165], v[186:189]// 00000000755C: D3E100BA 06EB4980
	v_mul_f32_e32 v76, v52, v76                                // 000000007564: 0A989934
	v_mul_f32_e32 v77, v53, v77                                // 000000007568: 0A9A9B35
	v_mul_f32_e32 v78, v54, v78                                // 00000000756C: 0A9C9D36
	v_mul_f32_e32 v79, v55, v79                                // 000000007570: 0A9E9F37
	v_mul_f32_e32 v80, v56, v80                                // 000000007574: 0AA0A138
	v_mul_f32_e32 v81, v57, v81                                // 000000007578: 0AA2A339
	v_mfma_f32_16x16x16_bf16 v[190:193], v[130:131], v[164:165], v[190:193]// 00000000757C: D3E100BE 06FB4982
	v_mul_f32_e32 v82, v58, v82                                // 000000007584: 0AA4A53A
	v_mul_f32_e32 v83, v59, v83                                // 000000007588: 0AA6A73B
	v_mul_f32_e32 v84, v60, v84                                // 00000000758C: 0AA8A93C
	v_mul_f32_e32 v85, v61, v85                                // 000000007590: 0AAAAB3D
	v_mul_f32_e32 v86, v62, v86                                // 000000007594: 0AACAD3E
	v_mul_f32_e32 v87, v63, v87                                // 000000007598: 0AAEAF3F
	v_mfma_f32_16x16x16_bf16 v[194:197], v[124:125], v[166:167], v[194:197]// 00000000759C: D3E100C2 070B4D7C
	v_cmp_u_f32_e64 s[74:75], v76, v76                         // 0000000075A4: D048004A 0002994C
	v_bfe_u32 v226, v76, 16, 1                                 // 0000000075AC: D1C800E2 0205214C
	v_add3_u32 v226, v76, v226, v229                           // 0000000075B4: D1FF00E2 0797C54C
	v_cndmask_b32_e64 v32, v226, v228, s[74:75]                // 0000000075BC: D1000020 012BC9E2
	v_lshrrev_b32_e32 v32, 16, v32                             // 0000000075C4: 20404090
	v_cmp_u_f32_e64 s[74:75], v77, v77                         // 0000000075C8: D048004A 00029B4D
	v_bfe_u32 v226, v77, 16, 1                                 // 0000000075D0: D1C800E2 0205214D
	v_add3_u32 v226, v77, v226, v229                           // 0000000075D8: D1FF00E2 0797C54D
	v_cndmask_b32_e64 v33, v226, v228, s[74:75]                // 0000000075E0: D1000021 012BC9E2
	v_and_or_b32 v76, v33, v227, v32                           // 0000000075E8: D201004C 0483C721
	v_cmp_u_f32_e64 s[74:75], v78, v78                         // 0000000075F0: D048004A 00029D4E
	v_bfe_u32 v226, v78, 16, 1                                 // 0000000075F8: D1C800E2 0205214E
	v_add3_u32 v226, v78, v226, v229                           // 000000007600: D1FF00E2 0797C54E
	v_cndmask_b32_e64 v32, v226, v228, s[74:75]                // 000000007608: D1000020 012BC9E2
	v_lshrrev_b32_e32 v32, 16, v32                             // 000000007610: 20404090
	v_cmp_u_f32_e64 s[74:75], v79, v79                         // 000000007614: D048004A 00029F4F
	v_bfe_u32 v226, v79, 16, 1                                 // 00000000761C: D1C800E2 0205214F
	v_add3_u32 v226, v79, v226, v229                           // 000000007624: D1FF00E2 0797C54F
	v_cndmask_b32_e64 v33, v226, v228, s[74:75]                // 00000000762C: D1000021 012BC9E2
	v_and_or_b32 v77, v33, v227, v32                           // 000000007634: D201004D 0483C721
	v_cmp_u_f32_e64 s[74:75], v80, v80                         // 00000000763C: D048004A 0002A150
	v_bfe_u32 v226, v80, 16, 1                                 // 000000007644: D1C800E2 02052150
	v_add3_u32 v226, v80, v226, v229                           // 00000000764C: D1FF00E2 0797C550
	v_cndmask_b32_e64 v32, v226, v228, s[74:75]                // 000000007654: D1000020 012BC9E2
	v_lshrrev_b32_e32 v32, 16, v32                             // 00000000765C: 20404090
	v_cmp_u_f32_e64 s[74:75], v81, v81                         // 000000007660: D048004A 0002A351
	v_bfe_u32 v226, v81, 16, 1                                 // 000000007668: D1C800E2 02052151
	v_add3_u32 v226, v81, v226, v229                           // 000000007670: D1FF00E2 0797C551
	v_cndmask_b32_e64 v33, v226, v228, s[74:75]                // 000000007678: D1000021 012BC9E2
	v_and_or_b32 v78, v33, v227, v32                           // 000000007680: D201004E 0483C721
	v_cmp_u_f32_e64 s[74:75], v82, v82                         // 000000007688: D048004A 0002A552
	v_bfe_u32 v226, v82, 16, 1                                 // 000000007690: D1C800E2 02052152
	v_add3_u32 v226, v82, v226, v229                           // 000000007698: D1FF00E2 0797C552
	v_cndmask_b32_e64 v32, v226, v228, s[74:75]                // 0000000076A0: D1000020 012BC9E2
	v_lshrrev_b32_e32 v32, 16, v32                             // 0000000076A8: 20404090
	v_cmp_u_f32_e64 s[74:75], v83, v83                         // 0000000076AC: D048004A 0002A753
	v_bfe_u32 v226, v83, 16, 1                                 // 0000000076B4: D1C800E2 02052153
	v_add3_u32 v226, v83, v226, v229                           // 0000000076BC: D1FF00E2 0797C553
	v_cndmask_b32_e64 v33, v226, v228, s[74:75]                // 0000000076C4: D1000021 012BC9E2
	v_and_or_b32 v79, v33, v227, v32                           // 0000000076CC: D201004F 0483C721
	v_cmp_u_f32_e64 s[74:75], v84, v84                         // 0000000076D4: D048004A 0002A954
	v_bfe_u32 v226, v84, 16, 1                                 // 0000000076DC: D1C800E2 02052154
	v_add3_u32 v226, v84, v226, v229                           // 0000000076E4: D1FF00E2 0797C554
	v_cndmask_b32_e64 v32, v226, v228, s[74:75]                // 0000000076EC: D1000020 012BC9E2
	v_lshrrev_b32_e32 v32, 16, v32                             // 0000000076F4: 20404090
	v_cmp_u_f32_e64 s[74:75], v85, v85                         // 0000000076F8: D048004A 0002AB55
	v_bfe_u32 v226, v85, 16, 1                                 // 000000007700: D1C800E2 02052155
	v_add3_u32 v226, v85, v226, v229                           // 000000007708: D1FF00E2 0797C555
	v_cndmask_b32_e64 v33, v226, v228, s[74:75]                // 000000007710: D1000021 012BC9E2
	v_and_or_b32 v80, v33, v227, v32                           // 000000007718: D2010050 0483C721
	v_cmp_u_f32_e64 s[74:75], v86, v86                         // 000000007720: D048004A 0002AD56
	v_bfe_u32 v226, v86, 16, 1                                 // 000000007728: D1C800E2 02052156
	v_add3_u32 v226, v86, v226, v229                           // 000000007730: D1FF00E2 0797C556
	v_cndmask_b32_e64 v32, v226, v228, s[74:75]                // 000000007738: D1000020 012BC9E2
	v_lshrrev_b32_e32 v32, 16, v32                             // 000000007740: 20404090
	v_cmp_u_f32_e64 s[74:75], v87, v87                         // 000000007744: D048004A 0002AF57
	v_bfe_u32 v226, v87, 16, 1                                 // 00000000774C: D1C800E2 02052157
	v_add3_u32 v226, v87, v226, v229                           // 000000007754: D1FF00E2 0797C557
	v_cndmask_b32_e64 v33, v226, v228, s[74:75]                // 00000000775C: D1000021 012BC9E2
	v_and_or_b32 v81, v33, v227, v32                           // 000000007764: D2010051 0483C721
	v_mfma_f32_16x16x16_bf16 v[198:201], v[126:127], v[166:167], v[198:201]// 00000000776C: D3E100C6 071B4D7E
	v_mov_b32_dpp v18, v76 quad_perm:[1,0,3,2] row_mask:0xf bank_mask:0xf// 000000007774: 7E2402FA FF00B14C
	v_perm_b32 v52, v18, v76, v17                              // 00000000777C: D1ED0034 04469912
	v_mov_b32_dpp v18, v77 quad_perm:[1,0,3,2] row_mask:0xf bank_mask:0xf// 000000007784: 7E2402FA FF00B14D
	v_perm_b32 v53, v18, v77, v17                              // 00000000778C: D1ED0035 04469B12
	v_mov_b32_dpp v18, v78 quad_perm:[1,0,3,2] row_mask:0xf bank_mask:0xf// 000000007794: 7E2402FA FF00B14E
	v_perm_b32 v54, v18, v78, v17                              // 00000000779C: D1ED0036 04469D12
	v_mfma_f32_16x16x16_bf16 v[202:205], v[128:129], v[166:167], v[202:205]// 0000000077A4: D3E100CA 072B4D80
	v_mov_b32_dpp v18, v79 quad_perm:[1,0,3,2] row_mask:0xf bank_mask:0xf// 0000000077AC: 7E2402FA FF00B14F
	v_perm_b32 v55, v18, v79, v17                              // 0000000077B4: D1ED0037 04469F12
	v_mov_b32_dpp v18, v80 quad_perm:[1,0,3,2] row_mask:0xf bank_mask:0xf// 0000000077BC: 7E2402FA FF00B150
	v_perm_b32 v56, v18, v80, v17                              // 0000000077C4: D1ED0038 0446A112
	v_mov_b32_dpp v18, v81 quad_perm:[1,0,3,2] row_mask:0xf bank_mask:0xf// 0000000077CC: 7E2402FA FF00B151
	v_perm_b32 v57, v18, v81, v17                              // 0000000077D4: D1ED0039 0446A312
	v_mfma_f32_16x16x16_bf16 v[206:209], v[130:131], v[166:167], v[206:209]// 0000000077DC: D3E100CE 073B4D82
	ds_write_b32 v20, v52 offset:17408                         // 0000000077E4: D81A4400 00003414
	ds_write_b32 v20, v53 offset:17952                         // 0000000077EC: D81A4620 00003514
	v_mfma_f32_16x16x16_bf16 v[210:213], v[124:125], v[168:169], v[210:213]// 0000000077F4: D3E100D2 074B517C
	v_subrev_f32_dpp v88, v177, v88 quad_perm:[0,0,0,0] row_mask:0xf bank_mask:0xf// 0000000077FC: 06B0B0FA FF0000B1
	v_subrev_f32_dpp v89, v177, v89 quad_perm:[1,1,1,1] row_mask:0xf bank_mask:0xf// 000000007804: 06B2B2FA FF0055B1
	v_subrev_f32_dpp v90, v177, v90 quad_perm:[2,2,2,2] row_mask:0xf bank_mask:0xf// 00000000780C: 06B4B4FA FF00AAB1
	v_subrev_f32_dpp v91, v177, v91 quad_perm:[3,3,3,3] row_mask:0xf bank_mask:0xf// 000000007814: 06B6B6FA FF00FFB1
	v_subrev_f32_dpp v92, v177, v92 quad_perm:[0,0,0,0] row_mask:0xf bank_mask:0xf// 00000000781C: 06B8B8FA FF0000B1
	v_subrev_f32_dpp v93, v177, v93 quad_perm:[1,1,1,1] row_mask:0xf bank_mask:0xf// 000000007824: 06BABAFA FF0055B1
	v_mfma_f32_16x16x16_bf16 v[214:217], v[126:127], v[168:169], v[214:217]// 00000000782C: D3E100D6 075B517E
	ds_write_b32 v20, v54 offset:19712                         // 000000007834: D81A4D00 00003614
	ds_write_b32 v20, v55 offset:20256                         // 00000000783C: D81A4F20 00003714
	v_mfma_f32_16x16x16_bf16 v[218:221], v[128:129], v[168:169], v[218:221]// 000000007844: D3E100DA 076B5180
	v_subrev_f32_dpp v94, v177, v94 quad_perm:[2,2,2,2] row_mask:0xf bank_mask:0xf// 00000000784C: 06BCBCFA FF00AAB1
	v_subrev_f32_dpp v95, v177, v95 quad_perm:[3,3,3,3] row_mask:0xf bank_mask:0xf// 000000007854: 06BEBEFA FF00FFB1
	v_subrev_f32_dpp v96, v177, v96 quad_perm:[0,0,0,0] row_mask:0xf bank_mask:0xf// 00000000785C: 06C0C0FA FF0000B1
	v_subrev_f32_dpp v97, v177, v97 quad_perm:[1,1,1,1] row_mask:0xf bank_mask:0xf// 000000007864: 06C2C2FA FF0055B1
	v_subrev_f32_dpp v98, v177, v98 quad_perm:[2,2,2,2] row_mask:0xf bank_mask:0xf// 00000000786C: 06C4C4FA FF00AAB1
	v_subrev_f32_dpp v99, v177, v99 quad_perm:[3,3,3,3] row_mask:0xf bank_mask:0xf// 000000007874: 06C6C6FA FF00FFB1
	v_mfma_f32_16x16x16_bf16 v[222:225], v[130:131], v[168:169], v[222:225]// 00000000787C: D3E100DE 077B5182
	ds_write_b32 v20, v56 offset:22016                         // 000000007884: D81A5600 00003814
	ds_write_b32 v20, v57 offset:22560                         // 00000000788C: D81A5820 00003914
	v_mfma_f32_16x16x16_bf16 v[178:181], v[132:133], v[170:171], v[178:181]// 000000007894: D3E100B2 06CB5584
	v_mul_f32_e32 v88, v64, v88                                // 00000000789C: 0AB0B140
	v_mul_f32_e32 v89, v65, v89                                // 0000000078A0: 0AB2B341
	v_mul_f32_e32 v90, v66, v90                                // 0000000078A4: 0AB4B542
	v_mul_f32_e32 v91, v67, v91                                // 0000000078A8: 0AB6B743
	v_mul_f32_e32 v92, v68, v92                                // 0000000078AC: 0AB8B944
	v_mul_f32_e32 v93, v69, v93                                // 0000000078B0: 0ABABB45
	v_mfma_f32_16x16x16_bf16 v[182:185], v[134:135], v[170:171], v[182:185]// 0000000078B4: D3E100B6 06DB5586
	v_mul_f32_e32 v94, v70, v94                                // 0000000078BC: 0ABCBD46
	v_mul_f32_e32 v95, v71, v95                                // 0000000078C0: 0ABEBF47
	v_mul_f32_e32 v96, v72, v96                                // 0000000078C4: 0AC0C148
	v_mul_f32_e32 v97, v73, v97                                // 0000000078C8: 0AC2C349
	v_mul_f32_e32 v98, v74, v98                                // 0000000078CC: 0AC4C54A
	v_mul_f32_e32 v99, v75, v99                                // 0000000078D0: 0AC6C74B
	v_mfma_f32_16x16x16_bf16 v[186:189], v[136:137], v[170:171], v[186:189]// 0000000078D4: D3E100BA 06EB5588
	v_cmp_u_f32_e64 s[74:75], v88, v88                         // 0000000078DC: D048004A 0002B158
	v_bfe_u32 v226, v88, 16, 1                                 // 0000000078E4: D1C800E2 02052158
	v_add3_u32 v226, v88, v226, v229                           // 0000000078EC: D1FF00E2 0797C558
	v_cndmask_b32_e64 v32, v226, v228, s[74:75]                // 0000000078F4: D1000020 012BC9E2
	v_lshrrev_b32_e32 v32, 16, v32                             // 0000000078FC: 20404090
	v_cmp_u_f32_e64 s[74:75], v89, v89                         // 000000007900: D048004A 0002B359
	v_bfe_u32 v226, v89, 16, 1                                 // 000000007908: D1C800E2 02052159
	v_add3_u32 v226, v89, v226, v229                           // 000000007910: D1FF00E2 0797C559
	v_cndmask_b32_e64 v33, v226, v228, s[74:75]                // 000000007918: D1000021 012BC9E2
	v_and_or_b32 v82, v33, v227, v32                           // 000000007920: D2010052 0483C721
	v_cmp_u_f32_e64 s[74:75], v90, v90                         // 000000007928: D048004A 0002B55A
	v_bfe_u32 v226, v90, 16, 1                                 // 000000007930: D1C800E2 0205215A
	v_add3_u32 v226, v90, v226, v229                           // 000000007938: D1FF00E2 0797C55A
	v_cndmask_b32_e64 v32, v226, v228, s[74:75]                // 000000007940: D1000020 012BC9E2
	v_lshrrev_b32_e32 v32, 16, v32                             // 000000007948: 20404090
	v_cmp_u_f32_e64 s[74:75], v91, v91                         // 00000000794C: D048004A 0002B75B
	v_bfe_u32 v226, v91, 16, 1                                 // 000000007954: D1C800E2 0205215B
	v_add3_u32 v226, v91, v226, v229                           // 00000000795C: D1FF00E2 0797C55B
	v_cndmask_b32_e64 v33, v226, v228, s[74:75]                // 000000007964: D1000021 012BC9E2
	v_and_or_b32 v83, v33, v227, v32                           // 00000000796C: D2010053 0483C721
	v_cmp_u_f32_e64 s[74:75], v92, v92                         // 000000007974: D048004A 0002B95C
	v_bfe_u32 v226, v92, 16, 1                                 // 00000000797C: D1C800E2 0205215C
	v_add3_u32 v226, v92, v226, v229                           // 000000007984: D1FF00E2 0797C55C
	v_cndmask_b32_e64 v32, v226, v228, s[74:75]                // 00000000798C: D1000020 012BC9E2
	v_lshrrev_b32_e32 v32, 16, v32                             // 000000007994: 20404090
	v_cmp_u_f32_e64 s[74:75], v93, v93                         // 000000007998: D048004A 0002BB5D
	v_bfe_u32 v226, v93, 16, 1                                 // 0000000079A0: D1C800E2 0205215D
	v_add3_u32 v226, v93, v226, v229                           // 0000000079A8: D1FF00E2 0797C55D
	v_cndmask_b32_e64 v33, v226, v228, s[74:75]                // 0000000079B0: D1000021 012BC9E2
	v_and_or_b32 v84, v33, v227, v32                           // 0000000079B8: D2010054 0483C721
	v_cmp_u_f32_e64 s[74:75], v94, v94                         // 0000000079C0: D048004A 0002BD5E
	v_bfe_u32 v226, v94, 16, 1                                 // 0000000079C8: D1C800E2 0205215E
	v_add3_u32 v226, v94, v226, v229                           // 0000000079D0: D1FF00E2 0797C55E
	v_cndmask_b32_e64 v32, v226, v228, s[74:75]                // 0000000079D8: D1000020 012BC9E2
	v_lshrrev_b32_e32 v32, 16, v32                             // 0000000079E0: 20404090
	v_cmp_u_f32_e64 s[74:75], v95, v95                         // 0000000079E4: D048004A 0002BF5F
	v_bfe_u32 v226, v95, 16, 1                                 // 0000000079EC: D1C800E2 0205215F
	v_add3_u32 v226, v95, v226, v229                           // 0000000079F4: D1FF00E2 0797C55F
	v_cndmask_b32_e64 v33, v226, v228, s[74:75]                // 0000000079FC: D1000021 012BC9E2
	v_and_or_b32 v85, v33, v227, v32                           // 000000007A04: D2010055 0483C721
	v_cmp_u_f32_e64 s[74:75], v96, v96                         // 000000007A0C: D048004A 0002C160
	v_bfe_u32 v226, v96, 16, 1                                 // 000000007A14: D1C800E2 02052160
	v_add3_u32 v226, v96, v226, v229                           // 000000007A1C: D1FF00E2 0797C560
	v_cndmask_b32_e64 v32, v226, v228, s[74:75]                // 000000007A24: D1000020 012BC9E2
	v_lshrrev_b32_e32 v32, 16, v32                             // 000000007A2C: 20404090
	v_cmp_u_f32_e64 s[74:75], v97, v97                         // 000000007A30: D048004A 0002C361
	v_bfe_u32 v226, v97, 16, 1                                 // 000000007A38: D1C800E2 02052161
	v_add3_u32 v226, v97, v226, v229                           // 000000007A40: D1FF00E2 0797C561
	v_cndmask_b32_e64 v33, v226, v228, s[74:75]                // 000000007A48: D1000021 012BC9E2
	v_and_or_b32 v86, v33, v227, v32                           // 000000007A50: D2010056 0483C721
	v_cmp_u_f32_e64 s[74:75], v98, v98                         // 000000007A58: D048004A 0002C562
	v_bfe_u32 v226, v98, 16, 1                                 // 000000007A60: D1C800E2 02052162
	v_add3_u32 v226, v98, v226, v229                           // 000000007A68: D1FF00E2 0797C562
	v_cndmask_b32_e64 v32, v226, v228, s[74:75]                // 000000007A70: D1000020 012BC9E2
	v_lshrrev_b32_e32 v32, 16, v32                             // 000000007A78: 20404090
	v_cmp_u_f32_e64 s[74:75], v99, v99                         // 000000007A7C: D048004A 0002C763
	v_bfe_u32 v226, v99, 16, 1                                 // 000000007A84: D1C800E2 02052163
	v_add3_u32 v226, v99, v226, v229                           // 000000007A8C: D1FF00E2 0797C563
	v_cndmask_b32_e64 v33, v226, v228, s[74:75]                // 000000007A94: D1000021 012BC9E2
	v_and_or_b32 v87, v33, v227, v32                           // 000000007A9C: D2010057 0483C721
	v_mfma_f32_16x16x16_bf16 v[190:193], v[138:139], v[170:171], v[190:193]// 000000007AA4: D3E100BE 06FB558A
	v_mov_b32_dpp v18, v82 quad_perm:[1,0,3,2] row_mask:0xf bank_mask:0xf// 000000007AAC: 7E2402FA FF00B152
	v_perm_b32 v58, v18, v82, v17                              // 000000007AB4: D1ED003A 0446A512
	v_mov_b32_dpp v18, v83 quad_perm:[1,0,3,2] row_mask:0xf bank_mask:0xf// 000000007ABC: 7E2402FA FF00B153
	v_perm_b32 v59, v18, v83, v17                              // 000000007AC4: D1ED003B 0446A712
	v_mov_b32_dpp v18, v84 quad_perm:[1,0,3,2] row_mask:0xf bank_mask:0xf// 000000007ACC: 7E2402FA FF00B154
	v_perm_b32 v60, v18, v84, v17                              // 000000007AD4: D1ED003C 0446A912
	v_mfma_f32_16x16x16_bf16 v[194:197], v[132:133], v[172:173], v[194:197]// 000000007ADC: D3E100C2 070B5984
	v_mov_b32_dpp v18, v85 quad_perm:[1,0,3,2] row_mask:0xf bank_mask:0xf// 000000007AE4: 7E2402FA FF00B155
	v_perm_b32 v61, v18, v85, v17                              // 000000007AEC: D1ED003D 0446AB12
	v_mov_b32_dpp v18, v86 quad_perm:[1,0,3,2] row_mask:0xf bank_mask:0xf// 000000007AF4: 7E2402FA FF00B156
	v_perm_b32 v62, v18, v86, v17                              // 000000007AFC: D1ED003E 0446AD12
	v_mov_b32_dpp v18, v87 quad_perm:[1,0,3,2] row_mask:0xf bank_mask:0xf// 000000007B04: 7E2402FA FF00B157
	v_perm_b32 v63, v18, v87, v17                              // 000000007B0C: D1ED003F 0446AF12
	v_mfma_f32_16x16x16_bf16 v[198:201], v[134:135], v[172:173], v[198:201]// 000000007B14: D3E100C6 071B5986
	ds_write_b32 v20, v58 offset:24320                         // 000000007B1C: D81A5F00 00003A14
	ds_write_b32 v20, v59 offset:24864                         // 000000007B24: D81A6120 00003B14
	v_mfma_f32_16x16x16_bf16 v[202:205], v[136:137], v[172:173], v[202:205]// 000000007B2C: D3E100CA 072B5988
	v_mfma_f32_16x16x16_bf16 v[206:209], v[138:139], v[172:173], v[206:209]// 000000007B34: D3E100CE 073B598A
	ds_write_b32 v20, v60 offset:26624                         // 000000007B3C: D81A6800 00003C14
	ds_write_b32 v20, v61 offset:27168                         // 000000007B44: D81A6A20 00003D14
	ds_write_b32 v20, v62 offset:28928                         // 000000007B4C: D81A7100 00003E14
	ds_write_b32 v20, v63 offset:29472                         // 000000007B54: D81A7320 00003F14
	v_mfma_f32_16x16x16_bf16 v[210:213], v[132:133], v[174:175], v[210:213]// 000000007B5C: D3E100D2 074B5D84
	v_mfma_f32_16x16x16_bf16 v[214:217], v[134:135], v[174:175], v[214:217]// 000000007B64: D3E100D6 075B5D86
	ds_write_b32 v15, v100 offset:4352                         // 000000007B6C: D81A1100 0000640F
	ds_write_b32 v15, v101 offset:5408                         // 000000007B74: D81A1520 0000650F
	v_mfma_f32_16x16x16_bf16 v[218:221], v[136:137], v[174:175], v[218:221]// 000000007B7C: D3E100DA 076B5D88
	s_nop 0                                                    // 000000007B84: BF800000
	s_nop 0                                                    // 000000007B88: BF800000
	s_nop 0                                                    // 000000007B8C: BF800000
	v_mfma_f32_16x16x16_bf16 v[222:225], v[138:139], v[174:175], v[222:225]// 000000007B90: D3E100DE 077B5D8A
	ds_write_b32 v15, v102 offset:6528                         // 000000007B98: D81A1980 0000660F
	ds_write_b32 v15, v103 offset:7584                         // 000000007BA0: D81A1DA0 0000670F
	s_barrier                                                  // 000000007BA8: BF8A0000
	v_mfma_f32_16x16x16_bf16 a[112:115], a[96:97], v[76:77], a[112:115]// 000000007BAC: D3E18070 0DC29960
	buffer_atomic_add_f32 v156, v6, s[32:35], 0 idxen          // 000000007BB4: E1342000 80089C06
	v_mfma_f32_16x16x16_bf16 a[116:119], a[98:99], v[76:77], a[116:119]// 000000007BBC: D3E18074 0DD29962
	ds_read_b32 v140, v23 offset:39424                         // 000000007BC4: D86C9A00 8C000017
	ds_read_b32 v144, v23 offset:39488                         // 000000007BCC: D86C9A40 90000017
	ds_read_b32 v176, v23 offset:39680                         // 000000007BD4: D86C9B00 B0000017
	ds_read_b32 v177, v23 offset:39744                         // 000000007BDC: D86C9B40 B1000017
	v_mfma_f32_16x16x16_bf16 a[120:123], a[100:101], v[76:77], a[120:123]// 000000007BE4: D3E18078 0DE29964
	s_waitcnt lgkmcnt(8)                                       // 000000007BEC: BF8CC87F
	s_barrier                                                  // 000000007BF0: BF8A0000
	v_mfma_f32_16x16x16_bf16 a[124:127], a[102:103], v[76:77], a[124:127]// 000000007BF4: D3E1807C 0DF29966
	ds_read_b128 v[52:55], v19 offset:17408                    // 000000007BFC: D9FE4400 34000013
	v_mfma_f32_16x16x16_bf16 a[128:131], a[96:97], v[78:79], a[128:131]// 000000007C04: D3E18080 0E029D60
	v_mfma_f32_16x16x16_bf16 a[132:135], a[98:99], v[78:79], a[132:135]// 000000007C0C: D3E18084 0E129D62
	ds_read_b128 v[56:59], v19 offset:18560                    // 000000007C14: D9FE4880 38000013
	v_mfma_f32_16x16x16_bf16 a[136:139], a[100:101], v[78:79], a[136:139]// 000000007C1C: D3E18088 0E229D64
	buffer_atomic_add_f32 v157, v7, s[32:35], 0 idxen          // 000000007C24: E1342000 80089D07
	v_mfma_f32_16x16x16_bf16 a[140:143], a[102:103], v[78:79], a[140:143]// 000000007C2C: D3E1808C 0E329D66
	ds_read_b128 v[60:63], v19 offset:19712                    // 000000007C34: D9FE4D00 3C000013
	v_mfma_f32_16x16x16_bf16 a[144:147], a[96:97], v[80:81], a[144:147]// 000000007C3C: D3E18090 0E42A160
	v_mfma_f32_16x16x16_bf16 a[148:151], a[98:99], v[80:81], a[148:151]// 000000007C44: D3E18094 0E52A162
	ds_read_b128 v[64:67], v19 offset:20864                    // 000000007C4C: D9FE5180 40000013
	v_mfma_f32_16x16x16_bf16 a[152:155], a[100:101], v[80:81], a[152:155]// 000000007C54: D3E18098 0E62A164
	v_mfma_f32_16x16x16_bf16 a[156:159], a[102:103], v[80:81], a[156:159]// 000000007C5C: D3E1809C 0E72A166
	ds_read_b128 v[68:71], v19 offset:22016                    // 000000007C64: D9FE5600 44000013
	v_mfma_f32_16x16x16_bf16 a[112:115], a[104:105], v[82:83], a[112:115]// 000000007C6C: D3E18070 0DC2A568
	buffer_atomic_add_f32 v158, v6, s[32:35], 0 idxen offset:128// 000000007C74: E1342080 80089E06
	v_mfma_f32_16x16x16_bf16 a[116:119], a[106:107], v[82:83], a[116:119]// 000000007C7C: D3E18074 0DD2A56A
	ds_read_b128 v[72:75], v19 offset:23168                    // 000000007C84: D9FE5A80 48000013
	v_mfma_f32_16x16x16_bf16 a[120:123], a[108:109], v[82:83], a[120:123]// 000000007C8C: D3E18078 0DE2A56C
	v_mfma_f32_16x16x16_bf16 a[124:127], a[110:111], v[82:83], a[124:127]// 000000007C94: D3E1807C 0DF2A56E
	ds_write_b32 v15, v104 offset:13056                        // 000000007C9C: D81A3300 0000680F
	v_mfma_f32_16x16x16_bf16 a[128:131], a[104:105], v[84:85], a[128:131]// 000000007CA4: D3E18080 0E02A968
	v_mfma_f32_16x16x16_bf16 a[132:135], a[106:107], v[84:85], a[132:135]// 000000007CAC: D3E18084 0E12A96A
	ds_write_b32 v15, v105 offset:14112                        // 000000007CB4: D81A3720 0000690F
	v_mfma_f32_16x16x16_bf16 a[136:139], a[108:109], v[84:85], a[136:139]// 000000007CBC: D3E18088 0E22A96C
	buffer_atomic_add_f32 v159, v7, s[32:35], 0 idxen offset:128// 000000007CC4: E1342080 80089F07
	v_mfma_f32_16x16x16_bf16 a[140:143], a[110:111], v[84:85], a[140:143]// 000000007CCC: D3E1808C 0E32A96E
	ds_write_b32 v15, v106 offset:15232                        // 000000007CD4: D81A3B80 00006A0F
	v_mfma_f32_16x16x16_bf16 a[144:147], a[104:105], v[86:87], a[144:147]// 000000007CDC: D3E18090 0E42AD68
	v_mfma_f32_16x16x16_bf16 a[148:151], a[106:107], v[86:87], a[148:151]// 000000007CE4: D3E18094 0E52AD6A
	ds_write_b32 v15, v107 offset:16288                        // 000000007CEC: D81A3FA0 00006B0F
	v_mfma_f32_16x16x16_bf16 a[152:155], a[108:109], v[86:87], a[152:155]// 000000007CF4: D3E18098 0E62AD6C
	v_mfma_f32_16x16x16_bf16 a[156:159], a[110:111], v[86:87], a[156:159]// 000000007CFC: D3E1809C 0E72AD6E
	s_waitcnt vmcnt(8) lgkmcnt(4)                              // 000000007D04: BF8C0478
	s_barrier                                                  // 000000007D08: BF8A0000
	v_mfma_f32_16x16x16_bf16 v[148:151], v[52:53], a[24:25], 0 // 000000007D0C: D3E10094 12023134
	v_mul_f32_e32 v140, s48, v140                              // 000000007D14: 0B191830
	v_mul_f32_e32 v144, s48, v144                              // 000000007D18: 0B212030
	s_nop 0                                                    // 000000007D1C: BF800000
	v_mfma_f32_16x16x16_bf16 v[148:151], v[54:55], a[28:29], v[148:151]// 000000007D20: D3E10094 16523936
	ds_read_b128 a[96:99], v12                                 // 000000007D28: DBFE0000 6000000C
	buffer_load_dword v36, v1, s[8:11], 0 idxen                // 000000007D30: E0502000 80022401
	v_mfma_f32_16x16x16_bf16 v[148:151], v[56:57], a[32:33], v[148:151]// 000000007D38: D3E10094 16524138
	v_mfma_f32_16x16x16_bf16 v[148:151], v[58:59], a[36:37], v[148:151]// 000000007D40: D3E10094 1652493A
	ds_read_b128 a[100:103], v12 offset:512                    // 000000007D48: DBFE0200 6400000C
	buffer_load_dword v37, v2, s[8:11], 0 idxen                // 000000007D50: E0502000 80022502
	v_mfma_f32_16x16x16_bf16 v[148:151], v[60:61], a[40:41], v[148:151]// 000000007D58: D3E10094 1652513C
	v_perm_b32 v100, v41, v40, s63                             // 000000007D60: D1ED0064 00FE5129
	v_perm_b32 v101, v41, v40, s64                             // 000000007D68: D1ED0065 01025129
	v_mfma_f32_16x16x16_bf16 v[148:151], v[62:63], a[44:45], v[148:151]// 000000007D70: D3E10094 1652593E
	ds_read_b128 a[104:107], v12 offset:2176                   // 000000007D78: DBFE0880 6800000C
	buffer_load_dword v38, v3, s[8:11], 0 idxen                // 000000007D80: E0502000 80022603
	v_mfma_f32_16x16x16_bf16 v[148:151], v[64:65], a[48:49], v[148:151]// 000000007D88: D3E10094 16526140
	v_perm_b32 v102, v43, v42, s63                             // 000000007D90: D1ED0066 00FE552B
	v_perm_b32 v103, v43, v42, s64                             // 000000007D98: D1ED0067 0102552B
	v_mfma_f32_16x16x16_bf16 v[148:151], v[66:67], a[52:53], v[148:151]// 000000007DA0: D3E10094 16526942
	ds_read_b128 a[108:111], v12 offset:2688                   // 000000007DA8: DBFE0A80 6C00000C
	buffer_load_dword v39, v4, s[8:11], 0 idxen                // 000000007DB0: E0502000 80022704
	v_mfma_f32_16x16x16_bf16 v[148:151], v[68:69], a[56:57], v[148:151]// 000000007DB8: D3E10094 16527144
	v_perm_b32 v104, v49, v48, s63                             // 000000007DC0: D1ED0068 00FE6131
	v_perm_b32 v105, v49, v48, s64                             // 000000007DC8: D1ED0069 01026131
	v_mfma_f32_16x16x16_bf16 v[148:151], v[70:71], a[60:61], v[148:151]// 000000007DD0: D3E10094 16527946
	ds_read_b128 v[108:111], v12 offset:8704                   // 000000007DD8: D9FE2200 6C00000C
	buffer_load_dword v44, v231, s[20:23], 0 idxen             // 000000007DE0: E0502000 80052CE7
	v_mfma_f32_16x16x16_bf16 v[148:151], v[72:73], a[64:65], v[148:151]// 000000007DE8: D3E10094 16528148
	v_perm_b32 v106, v51, v50, s63                             // 000000007DF0: D1ED006A 00FE6533
	v_perm_b32 v107, v51, v50, s64                             // 000000007DF8: D1ED006B 01026533
	v_mfma_f32_16x16x16_bf16 v[148:151], v[74:75], a[68:69], v[148:151]// 000000007E00: D3E10094 1652894A
	ds_read_b128 v[112:115], v12 offset:9216                   // 000000007E08: D9FE2400 7000000C
	buffer_load_dword v45, v232, s[20:23], 0 idxen             // 000000007E10: E0502000 80052DE8
	v_mfma_f32_16x16x16_bf16 v[152:155], v[52:53], a[26:27], 0 // 000000007E18: D3E10098 12023534
	v_mov_b32_dpp v143, v140 quad_perm:[3,3,3,3] row_mask:0xf bank_mask:0xf// 000000007E20: 7F1E02FA FF00FF8C
	v_mov_b32_dpp v142, v140 quad_perm:[2,2,2,2] row_mask:0xf bank_mask:0xf// 000000007E28: 7F1C02FA FF00AA8C
	v_mov_b32_dpp v141, v140 quad_perm:[1,1,1,1] row_mask:0xf bank_mask:0xf// 000000007E30: 7F1A02FA FF00558C
	v_mov_b32_dpp v140, v140 quad_perm:[0,0,0,0] row_mask:0xf bank_mask:0xf// 000000007E38: 7F1802FA FF00008C
	v_mfma_f32_16x16x16_bf16 v[152:155], v[54:55], a[30:31], v[152:155]// 000000007E40: D3E10098 16623D36
	ds_read_b128 v[116:119], v12 offset:10880                  // 000000007E48: D9FE2A80 7400000C
	buffer_load_dword v46, v233, s[20:23], 0 idxen             // 000000007E50: E0502000 80052EE9
	v_mfma_f32_16x16x16_bf16 v[152:155], v[56:57], a[34:35], v[152:155]// 000000007E58: D3E10098 16624538
	v_mov_b32_dpp v147, v144 quad_perm:[3,3,3,3] row_mask:0xf bank_mask:0xf// 000000007E60: 7F2602FA FF00FF90
	v_mov_b32_dpp v146, v144 quad_perm:[2,2,2,2] row_mask:0xf bank_mask:0xf// 000000007E68: 7F2402FA FF00AA90
	v_mov_b32_dpp v145, v144 quad_perm:[1,1,1,1] row_mask:0xf bank_mask:0xf// 000000007E70: 7F2202FA FF005590
	v_mov_b32_dpp v144, v144 quad_perm:[0,0,0,0] row_mask:0xf bank_mask:0xf// 000000007E78: 7F2002FA FF000090
	s_add_u32 s60, 0x80, s59                                   // 000000007E80: 803C3BFF 00000080
	v_mfma_f32_16x16x16_bf16 v[152:155], v[58:59], a[38:39], v[152:155]// 000000007E88: D3E10098 16624D3A
	ds_read_b128 v[120:123], v12 offset:11392                  // 000000007E90: D9FE2C80 7800000C
	buffer_load_dword v47, v234, s[20:23], 0 idxen             // 000000007E98: E0502000 80052FEA
	v_mfma_f32_16x16x16_bf16 v[152:155], v[60:61], a[42:43], v[152:155]// 000000007EA0: D3E10098 1662553C
	s_cmp_lt_u32 s60, s58                                      // 000000007EA8: BF0A3A3C
	s_cselect_b32 s68, s68, 0                                  // 000000007EAC: 85448044
	s_cselect_b32 s95, s95, 0                                  // 000000007EB0: 855F805F
	s_cselect_b32 s69, s69, 0                                  // 000000007EB4: 85458045
	v_mfma_f32_16x16x16_bf16 v[152:155], v[62:63], a[46:47], v[152:155]// 000000007EB8: D3E10098 16625D3E
	buffer_load_dword v11, s[24:27], 0 idxen lds               // 000000007EC0: E0512000 8006000B
	v_mfma_f32_16x16x16_bf16 v[152:155], v[64:65], a[50:51], v[152:155]// 000000007EC8: D3E10098 16626540
	v_add_u32_e32 v1, s68, v1                                  // 000000007ED0: 68020244
	v_add_u32_e32 v2, s68, v2                                  // 000000007ED4: 68040444
	v_add_u32_e32 v3, s68, v3                                  // 000000007ED8: 68060644
	v_add_u32_e32 v4, s68, v4                                  // 000000007EDC: 68080844
	v_mfma_f32_16x16x16_bf16 v[152:155], v[66:67], a[54:55], v[152:155]// 000000007EE0: D3E10098 16626D42
	v_add_u32_e32 v231, s95, v231                              // 000000007EE8: 69CFCE5F
	v_add_u32_e32 v232, s95, v232                              // 000000007EEC: 69D1D05F
	v_add_u32_e32 v233, s95, v233                              // 000000007EF0: 69D3D25F
	v_add_u32_e32 v234, s95, v234                              // 000000007EF4: 69D5D45F
	v_mfma_f32_16x16x16_bf16 v[152:155], v[68:69], a[58:59], v[152:155]// 000000007EF8: D3E10098 16627544
	s_mov_b32 m0, s77                                          // 000000007F00: BEFC004D
	v_add_u32_e32 v11, s69, v11                                // 000000007F04: 68161645
	v_mfma_f32_16x16x16_bf16 v[152:155], v[70:71], a[62:63], v[152:155]// 000000007F08: D3E10098 16627D46
	s_cmp_ge_u32 s59, 32                                       // 000000007F10: BF09A03B
	s_cselect_b32 s66, s67, s66                                // 000000007F14: 85424243
	v_mfma_f32_16x16x16_bf16 v[152:155], v[72:73], a[66:67], v[152:155]// 000000007F18: D3E10098 16628548
	s_addk_i32 s59, 0x20                                       // 000000007F20: B73B0020
	s_nop 0                                                    // 000000007F24: BF800000
	s_cmp_lt_i32 s59, s58                                      // 000000007F28: BF043A3B
	v_mfma_f32_16x16x16_bf16 v[152:155], v[74:75], a[70:71], v[152:155]// 000000007F2C: D3E10098 16628D4A
	s_cbranch_scc0 label_0FE1                                  // 000000007F34: BF840001
	s_branch label_061C                                        // 000000007F38: BF82F64D

0000000000007f3c <label_0FE1>:
	s_nop 0                                                    // 000000007F3C: BF800000
	s_nop 0                                                    // 000000007F40: BF800000
	s_branch label_19A9                                        // 000000007F44: BF8209B3

0000000000007f48 <label_0FE4>:
	s_waitcnt lgkmcnt(0)                                       // 000000007F48: BF8CC07F
	s_barrier                                                  // 000000007F4C: BF8A0000
	v_mfma_f32_16x16x16_bf16 v[52:55], a[96:97], a[0:1], 0     // 000000007F50: D3E10034 1A020160
	v_mul_f32_e32 v148, s47, v148                              // 000000007F58: 0B29282F
	v_mul_f32_e32 v149, s47, v149                              // 000000007F5C: 0B2B2A2F
	v_mfma_f32_16x16x16_bf16 v[52:55], a[98:99], a[2:3], v[52:55]// 000000007F60: D3E10034 1CD20562
	ds_write_b32 v13, v48 offset:8704                          // 000000007F68: D81A2200 0000300D
	ds_write_b32 v13, v49 offset:9760                          // 000000007F70: D81A2620 0000310D
	v_mfma_f32_16x16x16_bf16 v[52:55], a[100:101], a[4:5], v[52:55]// 000000007F78: D3E10034 1CD20964
	v_mul_f32_e32 v150, s47, v150                              // 000000007F80: 0B2D2C2F
	v_mul_f32_e32 v151, s47, v151                              // 000000007F84: 0B2F2E2F
	v_mfma_f32_16x16x16_bf16 v[52:55], a[102:103], a[6:7], v[52:55]// 000000007F88: D3E10034 1CD20D66
	ds_write_b32 v13, v50 offset:10880                         // 000000007F90: D81A2A80 0000320D
	ds_write_b32 v13, v51 offset:11936                         // 000000007F98: D81A2EA0 0000330D
	v_mfma_f32_16x16x16_bf16 v[56:59], a[96:97], a[8:9], 0     // 000000007FA0: D3E10038 1A021160
	v_mul_f32_e32 v152, s47, v152                              // 000000007FA8: 0B31302F
	v_mul_f32_e32 v153, s47, v153                              // 000000007FAC: 0B33322F
	v_mfma_f32_16x16x16_bf16 v[56:59], a[98:99], a[10:11], v[56:59]// 000000007FB0: D3E10038 1CE21562
	ds_write_b64 v22, v[148:149] offset:31232                  // 000000007FB8: D89A7A00 00009416
	v_mfma_f32_16x16x16_bf16 v[56:59], a[100:101], a[12:13], v[56:59]// 000000007FC0: D3E10038 1CE21964
	v_mul_f32_e32 v154, s47, v154                              // 000000007FC8: 0B35342F
	v_mul_f32_e32 v155, s47, v155                              // 000000007FCC: 0B37362F
	v_mfma_f32_16x16x16_bf16 v[56:59], a[102:103], a[14:15], v[56:59]// 000000007FD0: D3E10038 1CE21D66
	ds_write_b64 v22, v[150:151] offset:31744                  // 000000007FD8: D89A7C00 00009616
	v_mfma_f32_16x16x16_bf16 v[60:63], a[96:97], a[16:17], 0   // 000000007FE0: D3E1003C 1A022160
	buffer_atomic_add_f32 v160, v8, s[32:35], 0 idxen          // 000000007FE8: E1342000 8008A008
	v_mfma_f32_16x16x16_bf16 v[60:63], a[98:99], a[18:19], v[60:63]// 000000007FF0: D3E1003C 1CF22562
	ds_write_b64 v22, v[152:153] offset:32256                  // 000000007FF8: D89A7E00 00009816
	v_mfma_f32_16x16x16_bf16 v[60:63], a[100:101], a[20:21], v[60:63]// 000000008000: D3E1003C 1CF22964
	v_mfma_f32_16x16x16_bf16 v[60:63], a[102:103], a[22:23], v[60:63]// 000000008008: D3E1003C 1CF22D66
	ds_write_b64 v22, v[154:155] offset:32768                  // 000000008010: D89A8000 00009A16
	v_mfma_f32_16x16x16_bf16 v[64:67], a[104:105], a[0:1], 0   // 000000008018: D3E10040 1A020168
	buffer_atomic_add_f32 v161, v9, s[32:35], 0 idxen          // 000000008020: E1342000 8008A109
	v_mfma_f32_16x16x16_bf16 v[64:67], a[106:107], a[2:3], v[64:67]// 000000008028: D3E10040 1D02056A
	ds_read_b128 v[124:127], v14 offset:13056                  // 000000008030: D9FE3300 7C00000E
	ds_write_b32 v13, v40                                      // 000000008038: D81A0000 0000280D
	v_mfma_f32_16x16x16_bf16 v[64:67], a[108:109], a[4:5], v[64:67]// 000000008040: D3E10040 1D02096C
	v_mfma_f32_16x16x16_bf16 v[64:67], a[110:111], a[6:7], v[64:67]// 000000008048: D3E10040 1D020D6E
	v_mfma_f32_16x16x16_bf16 v[68:71], a[104:105], a[8:9], 0   // 000000008050: D3E10044 1A021168
	ds_read_b128 v[128:131], v14 offset:13568                  // 000000008058: D9FE3500 8000000E
	ds_write_b32 v13, v41 offset:1056                          // 000000008060: D81A0420 0000290D
	v_mfma_f32_16x16x16_bf16 v[68:71], a[106:107], a[10:11], v[68:71]// 000000008068: D3E10044 1D12156A
	buffer_atomic_add_f32 v162, v8, s[32:35], 0 idxen offset:128// 000000008070: E1342080 8008A208
	v_mfma_f32_16x16x16_bf16 v[68:71], a[108:109], a[12:13], v[68:71]// 000000008078: D3E10044 1D12196C
	v_mfma_f32_16x16x16_bf16 v[68:71], a[110:111], a[14:15], v[68:71]// 000000008080: D3E10044 1D121D6E
	ds_read_b128 v[132:135], v14 offset:15232                  // 000000008088: D9FE3B80 8400000E
	ds_write_b32 v13, v42 offset:2176                          // 000000008090: D81A0880 00002A0D
	v_mfma_f32_16x16x16_bf16 v[72:75], a[104:105], a[16:17], 0 // 000000008098: D3E10048 1A022168
	v_mfma_f32_16x16x16_bf16 v[72:75], a[106:107], a[18:19], v[72:75]// 0000000080A0: D3E10048 1D22256A
	buffer_atomic_add_f32 v163, v9, s[32:35], 0 idxen offset:128// 0000000080A8: E1342080 8008A309
	v_mfma_f32_16x16x16_bf16 v[72:75], a[108:109], a[20:21], v[72:75]// 0000000080B0: D3E10048 1D22296C
	ds_read_b128 v[136:139], v14 offset:15744                  // 0000000080B8: D9FE3D80 8800000E
	ds_write_b32 v13, v43 offset:3232                          // 0000000080C0: D81A0CA0 00002B0D
	v_mfma_f32_16x16x16_bf16 v[72:75], a[110:111], a[22:23], v[72:75]// 0000000080C8: D3E10048 1D222D6E
	s_cmp_lt_i32 s97, 0xc0                                     // 0000000080D0: BF04FF61 000000C0
	s_cbranch_scc0 label_10BF                                  // 0000000080D8: BF84006D
	s_cmp_le_i32 s97, 64                                       // 0000000080DC: BF05C061
	s_cbranch_scc1 label_1052                                  // 0000000080E0: BF850007
	s_cmp_le_i32 s97, 0x80                                     // 0000000080E4: BF05FF61 00000080
	s_cbranch_scc1 label_1076                                  // 0000000080EC: BF85001F
	s_cmp_lt_i32 s97, 0xc0                                     // 0000000080F0: BF04FF61 000000C0
	s_cbranch_scc1 label_109A                                  // 0000000080F8: BF850040
	s_branch label_10BF                                        // 0000000080FC: BF820064

0000000000008100 <label_1052>:
	s_mov_b32 s60, 0                                           // 000000008100: BEBC0080
	v_and_b32_e32 v32, 15, v0                                  // 000000008104: 2640008F
	v_add_u32_e64 v32, v32, s60                                // 000000008108: D1340020 00007920
	v_mul_i32_i24_e64 v33, s46, 16                             // 000000008110: D1060021 0001202E
	v_add_u32_e32 v32, v32, v33                                // 000000008118: 68404320
	v_cmp_lt_u32_e64 s[60:61], v32, s97                        // 00000000811C: D0C9003C 0000C320
	s_nop 1                                                    // 000000008124: BF800001
	v_cndmask_b32_e64 v52, v230, v52, s[60:61]                 // 000000008128: D1000034 00F269E6
	v_cndmask_b32_e64 v64, v230, v64, s[60:61]                 // 000000008130: D1000040 00F281E6
	v_cndmask_b32_e64 v53, v230, v53, s[60:61]                 // 000000008138: D1000035 00F26BE6
	v_cndmask_b32_e64 v65, v230, v65, s[60:61]                 // 000000008140: D1000041 00F283E6
	v_cndmask_b32_e64 v54, v230, v54, s[60:61]                 // 000000008148: D1000036 00F26DE6
	v_cndmask_b32_e64 v66, v230, v66, s[60:61]                 // 000000008150: D1000042 00F285E6
	v_cndmask_b32_e64 v55, v230, v55, s[60:61]                 // 000000008158: D1000037 00F26FE6
	v_cndmask_b32_e64 v67, v230, v67, s[60:61]                 // 000000008160: D1000043 00F287E6
	s_branch label_1091                                        // 000000008168: BF82001B

000000000000816c <label_1076>:
	s_mov_b32 s60, 64                                          // 00000000816C: BEBC00C0
	v_and_b32_e32 v32, 15, v0                                  // 000000008170: 2640008F
	v_add_u32_e64 v32, v32, s60                                // 000000008174: D1340020 00007920
	v_mul_i32_i24_e64 v33, s46, 16                             // 00000000817C: D1060021 0001202E
	v_add_u32_e32 v32, v32, v33                                // 000000008184: 68404320
	v_cmp_lt_u32_e64 s[60:61], v32, s97                        // 000000008188: D0C9003C 0000C320
	s_nop 1                                                    // 000000008190: BF800001
	v_cndmask_b32_e64 v56, v230, v56, s[60:61]                 // 000000008194: D1000038 00F271E6
	v_cndmask_b32_e64 v68, v230, v68, s[60:61]                 // 00000000819C: D1000044 00F289E6
	v_cndmask_b32_e64 v57, v230, v57, s[60:61]                 // 0000000081A4: D1000039 00F273E6
	v_cndmask_b32_e64 v69, v230, v69, s[60:61]                 // 0000000081AC: D1000045 00F28BE6
	v_cndmask_b32_e64 v58, v230, v58, s[60:61]                 // 0000000081B4: D100003A 00F275E6
	v_cndmask_b32_e64 v70, v230, v70, s[60:61]                 // 0000000081BC: D1000046 00F28DE6
	v_cndmask_b32_e64 v59, v230, v59, s[60:61]                 // 0000000081C4: D100003B 00F277E6
	v_cndmask_b32_e64 v71, v230, v71, s[60:61]                 // 0000000081CC: D1000047 00F28FE6
	s_branch label_10B6                                        // 0000000081D4: BF820025

00000000000081d8 <label_1091>:
	v_mov_b32_e32 v56, v230                                    // 0000000081D8: 7E7003E6
	v_mov_b32_e32 v68, v230                                    // 0000000081DC: 7E8803E6
	v_mov_b32_e32 v57, v230                                    // 0000000081E0: 7E7203E6
	v_mov_b32_e32 v69, v230                                    // 0000000081E4: 7E8A03E6
	v_mov_b32_e32 v58, v230                                    // 0000000081E8: 7E7403E6
	v_mov_b32_e32 v70, v230                                    // 0000000081EC: 7E8C03E6
	v_mov_b32_e32 v59, v230                                    // 0000000081F0: 7E7603E6
	v_mov_b32_e32 v71, v230                                    // 0000000081F4: 7E8E03E6
	s_branch label_10B6                                        // 0000000081F8: BF82001C

00000000000081fc <label_109A>:
	s_mov_b32 s60, 0x80                                        // 0000000081FC: BEBC00FF 00000080
	v_and_b32_e32 v32, 15, v0                                  // 000000008204: 2640008F
	v_add_u32_e64 v32, v32, s60                                // 000000008208: D1340020 00007920
	v_mul_i32_i24_e64 v33, s46, 16                             // 000000008210: D1060021 0001202E
	v_add_u32_e32 v32, v32, v33                                // 000000008218: 68404320
	v_cmp_lt_u32_e64 s[60:61], v32, s97                        // 00000000821C: D0C9003C 0000C320
	s_nop 1                                                    // 000000008224: BF800001
	v_cndmask_b32_e64 v60, v230, v60, s[60:61]                 // 000000008228: D100003C 00F279E6
	v_cndmask_b32_e64 v72, v230, v72, s[60:61]                 // 000000008230: D1000048 00F291E6
	v_cndmask_b32_e64 v61, v230, v61, s[60:61]                 // 000000008238: D100003D 00F27BE6
	v_cndmask_b32_e64 v73, v230, v73, s[60:61]                 // 000000008240: D1000049 00F293E6
	v_cndmask_b32_e64 v62, v230, v62, s[60:61]                 // 000000008248: D100003E 00F27DE6
	v_cndmask_b32_e64 v74, v230, v74, s[60:61]                 // 000000008250: D100004A 00F295E6
	v_cndmask_b32_e64 v63, v230, v63, s[60:61]                 // 000000008258: D100003F 00F27FE6
	v_cndmask_b32_e64 v75, v230, v75, s[60:61]                 // 000000008260: D100004B 00F297E6
	s_branch label_10BF                                        // 000000008268: BF820009

000000000000826c <label_10B6>:
	v_mov_b32_e32 v60, v230                                    // 00000000826C: 7E7803E6
	v_mov_b32_e32 v72, v230                                    // 000000008270: 7E9003E6
	v_mov_b32_e32 v61, v230                                    // 000000008274: 7E7A03E6
	v_mov_b32_e32 v73, v230                                    // 000000008278: 7E9203E6
	v_mov_b32_e32 v62, v230                                    // 00000000827C: 7E7C03E6
	v_mov_b32_e32 v74, v230                                    // 000000008280: 7E9403E6
	v_mov_b32_e32 v63, v230                                    // 000000008284: 7E7E03E6
	v_mov_b32_e32 v75, v230                                    // 000000008288: 7E9603E6
	s_branch label_10BF                                        // 00000000828C: BF820000

0000000000008290 <label_10BF>:
	s_waitcnt lgkmcnt(8)                                       // 000000008290: BF8CC87F
	s_barrier                                                  // 000000008294: BF8A0000
	v_mfma_f32_16x16x16_bf16 v[76:79], v[108:109], a[72:73], 0 // 000000008298: D3E1004C 1202916C
	v_fma_f32 v52, v52, s57, -v140                             // 0000000082A0: D1CB0034 86307334
	v_fma_f32 v53, v53, s57, -v141                             // 0000000082A8: D1CB0035 86347335
	v_fma_f32 v54, v54, s57, -v142                             // 0000000082B0: D1CB0036 86387336
	v_fma_f32 v55, v55, s57, -v143                             // 0000000082B8: D1CB0037 863C7337
	v_fma_f32 v56, v56, s57, -v140                             // 0000000082C0: D1CB0038 86307338
	v_fma_f32 v57, v57, s57, -v141                             // 0000000082C8: D1CB0039 86347339
	v_mfma_f32_16x16x16_bf16 v[76:79], v[110:111], a[74:75], v[76:79]// 0000000082D0: D3E1004C 1532956E
	ds_read_b128 a[96:99], v14 offset:4352                     // 0000000082D8: DBFE1100 6000000E
	ds_read_b128 a[100:103], v14 offset:4864                   // 0000000082E0: DBFE1300 6400000E
	v_mfma_f32_16x16x16_bf16 v[76:79], v[112:113], a[76:77], v[76:79]// 0000000082E8: D3E1004C 15329970
	v_fma_f32 v58, v58, s57, -v142                             // 0000000082F0: D1CB003A 8638733A
	v_fma_f32 v59, v59, s57, -v143                             // 0000000082F8: D1CB003B 863C733B
	v_fma_f32 v60, v60, s57, -v140                             // 000000008300: D1CB003C 8630733C
	v_fma_f32 v61, v61, s57, -v141                             // 000000008308: D1CB003D 8634733D
	v_fma_f32 v62, v62, s57, -v142                             // 000000008310: D1CB003E 8638733E
	v_fma_f32 v63, v63, s57, -v143                             // 000000008318: D1CB003F 863C733F
	v_mfma_f32_16x16x16_bf16 v[76:79], v[114:115], a[78:79], v[76:79]// 000000008320: D3E1004C 15329D72
	v_fma_f32 v64, v64, s57, -v144                             // 000000008328: D1CB0040 86407340
	v_fma_f32 v65, v65, s57, -v145                             // 000000008330: D1CB0041 86447341
	v_fma_f32 v66, v66, s57, -v146                             // 000000008338: D1CB0042 86487342
	v_fma_f32 v67, v67, s57, -v147                             // 000000008340: D1CB0043 864C7343
	v_fma_f32 v68, v68, s57, -v144                             // 000000008348: D1CB0044 86407344
	v_fma_f32 v69, v69, s57, -v145                             // 000000008350: D1CB0045 86447345
	v_mfma_f32_16x16x16_bf16 v[80:83], v[108:109], a[80:81], 0 // 000000008358: D3E10050 1202A16C
	v_fma_f32 v70, v70, s57, -v146                             // 000000008360: D1CB0046 86487346
	v_fma_f32 v71, v71, s57, -v147                             // 000000008368: D1CB0047 864C7347
	v_fma_f32 v72, v72, s57, -v144                             // 000000008370: D1CB0048 86407348
	v_fma_f32 v73, v73, s57, -v145                             // 000000008378: D1CB0049 86447349
	v_fma_f32 v74, v74, s57, -v146                             // 000000008380: D1CB004A 8648734A
	v_fma_f32 v75, v75, s57, -v147                             // 000000008388: D1CB004B 864C734B
	v_mfma_f32_16x16x16_bf16 v[80:83], v[110:111], a[82:83], v[80:83]// 000000008390: D3E10050 1542A56E
	ds_read_b128 a[104:107], v14 offset:6528                   // 000000008398: DBFE1980 6800000E
	ds_read_b128 a[108:111], v14 offset:7040                   // 0000000083A0: DBFE1B80 6C00000E
	v_mfma_f32_16x16x16_bf16 v[80:83], v[112:113], a[84:85], v[80:83]// 0000000083A8: D3E10050 1542A970
	v_exp_f32_e32 v52, v52                                     // 0000000083B0: 7E684134
	v_exp_f32_e32 v53, v53                                     // 0000000083B4: 7E6A4135
	v_mfma_f32_16x16x16_bf16 v[80:83], v[114:115], a[86:87], v[80:83]// 0000000083B8: D3E10050 1542AD72
	v_exp_f32_e32 v54, v54                                     // 0000000083C0: 7E6C4136
	v_exp_f32_e32 v55, v55                                     // 0000000083C4: 7E6E4137
	v_mfma_f32_16x16x16_bf16 v[84:87], v[108:109], a[88:89], 0 // 0000000083C8: D3E10054 1202B16C
	v_exp_f32_e32 v56, v56                                     // 0000000083D0: 7E704138
	v_exp_f32_e32 v57, v57                                     // 0000000083D4: 7E724139
	v_mfma_f32_16x16x16_bf16 v[84:87], v[110:111], a[90:91], v[84:87]// 0000000083D8: D3E10054 1552B56E
	ds_read_b64 v[156:157], v21 offset:31232                   // 0000000083E0: D8EC7A00 9C000015
	ds_read_b64 v[158:159], v21 offset:33280                   // 0000000083E8: D8EC8200 9E000015
	v_mfma_f32_16x16x16_bf16 v[84:87], v[112:113], a[92:93], v[84:87]// 0000000083F0: D3E10054 1552B970
	v_exp_f32_e32 v58, v58                                     // 0000000083F8: 7E74413A
	v_exp_f32_e32 v59, v59                                     // 0000000083FC: 7E76413B
	v_mfma_f32_16x16x16_bf16 v[84:87], v[114:115], a[94:95], v[84:87]// 000000008400: D3E10054 1552BD72
	ds_read_b64 v[160:161], v21 offset:35328                   // 000000008408: D8EC8A00 A0000015
	ds_read_b64 v[162:163], v21 offset:37376                   // 000000008410: D8EC9200 A2000015
	v_mfma_f32_16x16x16_bf16 v[88:91], v[116:117], a[72:73], 0 // 000000008418: D3E10058 12029174
	v_exp_f32_e32 v60, v60                                     // 000000008420: 7E78413C
	v_exp_f32_e32 v61, v61                                     // 000000008424: 7E7A413D
	v_mfma_f32_16x16x16_bf16 v[88:91], v[118:119], a[74:75], v[88:91]// 000000008428: D3E10058 15629576
	v_exp_f32_e32 v62, v62                                     // 000000008430: 7E7C413E
	v_exp_f32_e32 v63, v63                                     // 000000008434: 7E7E413F
	v_mfma_f32_16x16x16_bf16 v[88:91], v[120:121], a[76:77], v[88:91]// 000000008438: D3E10058 15629978
	v_exp_f32_e32 v64, v64                                     // 000000008440: 7E804140
	v_exp_f32_e32 v65, v65                                     // 000000008444: 7E824141
	v_mfma_f32_16x16x16_bf16 v[88:91], v[122:123], a[78:79], v[88:91]// 000000008448: D3E10058 15629D7A
	v_exp_f32_e32 v66, v66                                     // 000000008450: 7E844142
	v_exp_f32_e32 v67, v67                                     // 000000008454: 7E864143
	v_mfma_f32_16x16x16_bf16 v[92:95], v[116:117], a[80:81], 0 // 000000008458: D3E1005C 1202A174
	v_exp_f32_e32 v68, v68                                     // 000000008460: 7E884144
	v_exp_f32_e32 v69, v69                                     // 000000008464: 7E8A4145
	v_mfma_f32_16x16x16_bf16 v[92:95], v[118:119], a[82:83], v[92:95]// 000000008468: D3E1005C 1572A576
	v_exp_f32_e32 v70, v70                                     // 000000008470: 7E8C4146
	v_exp_f32_e32 v71, v71                                     // 000000008474: 7E8E4147
	v_mfma_f32_16x16x16_bf16 v[92:95], v[120:121], a[84:85], v[92:95]// 000000008478: D3E1005C 1572A978
	v_exp_f32_e32 v72, v72                                     // 000000008480: 7E904148
	v_exp_f32_e32 v73, v73                                     // 000000008484: 7E924149
	v_mfma_f32_16x16x16_bf16 v[92:95], v[122:123], a[86:87], v[92:95]// 000000008488: D3E1005C 1572AD7A
	v_exp_f32_e32 v74, v74                                     // 000000008490: 7E94414A
	v_exp_f32_e32 v75, v75                                     // 000000008494: 7E96414B
	v_mfma_f32_16x16x16_bf16 v[96:99], v[116:117], a[88:89], 0 // 000000008498: D3E10060 1202B174
	v_cmp_u_f32_e64 s[74:75], v52, v52                         // 0000000084A0: D048004A 00026934
	v_bfe_u32 v226, v52, 16, 1                                 // 0000000084A8: D1C800E2 02052134
	v_add3_u32 v226, v52, v226, v229                           // 0000000084B0: D1FF00E2 0797C534
	v_cndmask_b32_e64 v32, v226, v228, s[74:75]                // 0000000084B8: D1000020 012BC9E2
	v_lshrrev_b32_e32 v32, 16, v32                             // 0000000084C0: 20404090
	v_cmp_u_f32_e64 s[74:75], v53, v53                         // 0000000084C4: D048004A 00026B35
	v_bfe_u32 v226, v53, 16, 1                                 // 0000000084CC: D1C800E2 02052135
	v_add3_u32 v226, v53, v226, v229                           // 0000000084D4: D1FF00E2 0797C535
	v_cndmask_b32_e64 v33, v226, v228, s[74:75]                // 0000000084DC: D1000021 012BC9E2
	v_and_or_b32 v164, v33, v227, v32                          // 0000000084E4: D20100A4 0483C721
	v_cmp_u_f32_e64 s[74:75], v54, v54                         // 0000000084EC: D048004A 00026D36
	v_bfe_u32 v226, v54, 16, 1                                 // 0000000084F4: D1C800E2 02052136
	v_add3_u32 v226, v54, v226, v229                           // 0000000084FC: D1FF00E2 0797C536
	v_cndmask_b32_e64 v32, v226, v228, s[74:75]                // 000000008504: D1000020 012BC9E2
	v_lshrrev_b32_e32 v32, 16, v32                             // 00000000850C: 20404090
	v_cmp_u_f32_e64 s[74:75], v55, v55                         // 000000008510: D048004A 00026F37
	v_bfe_u32 v226, v55, 16, 1                                 // 000000008518: D1C800E2 02052137
	v_add3_u32 v226, v55, v226, v229                           // 000000008520: D1FF00E2 0797C537
	v_cndmask_b32_e64 v33, v226, v228, s[74:75]                // 000000008528: D1000021 012BC9E2
	v_and_or_b32 v165, v33, v227, v32                          // 000000008530: D20100A5 0483C721
	v_cmp_u_f32_e64 s[74:75], v56, v56                         // 000000008538: D048004A 00027138
	v_bfe_u32 v226, v56, 16, 1                                 // 000000008540: D1C800E2 02052138
	v_add3_u32 v226, v56, v226, v229                           // 000000008548: D1FF00E2 0797C538
	v_cndmask_b32_e64 v32, v226, v228, s[74:75]                // 000000008550: D1000020 012BC9E2
	v_lshrrev_b32_e32 v32, 16, v32                             // 000000008558: 20404090
	v_cmp_u_f32_e64 s[74:75], v57, v57                         // 00000000855C: D048004A 00027339
	v_bfe_u32 v226, v57, 16, 1                                 // 000000008564: D1C800E2 02052139
	v_add3_u32 v226, v57, v226, v229                           // 00000000856C: D1FF00E2 0797C539
	v_cndmask_b32_e64 v33, v226, v228, s[74:75]                // 000000008574: D1000021 012BC9E2
	v_and_or_b32 v166, v33, v227, v32                          // 00000000857C: D20100A6 0483C721
	v_cmp_u_f32_e64 s[74:75], v58, v58                         // 000000008584: D048004A 0002753A
	v_bfe_u32 v226, v58, 16, 1                                 // 00000000858C: D1C800E2 0205213A
	v_add3_u32 v226, v58, v226, v229                           // 000000008594: D1FF00E2 0797C53A
	v_cndmask_b32_e64 v32, v226, v228, s[74:75]                // 00000000859C: D1000020 012BC9E2
	v_lshrrev_b32_e32 v32, 16, v32                             // 0000000085A4: 20404090
	v_cmp_u_f32_e64 s[74:75], v59, v59                         // 0000000085A8: D048004A 0002773B
	v_bfe_u32 v226, v59, 16, 1                                 // 0000000085B0: D1C800E2 0205213B
	v_add3_u32 v226, v59, v226, v229                           // 0000000085B8: D1FF00E2 0797C53B
	v_cndmask_b32_e64 v33, v226, v228, s[74:75]                // 0000000085C0: D1000021 012BC9E2
	v_and_or_b32 v167, v33, v227, v32                          // 0000000085C8: D20100A7 0483C721
	v_cmp_u_f32_e64 s[74:75], v60, v60                         // 0000000085D0: D048004A 0002793C
	v_bfe_u32 v226, v60, 16, 1                                 // 0000000085D8: D1C800E2 0205213C
	v_add3_u32 v226, v60, v226, v229                           // 0000000085E0: D1FF00E2 0797C53C
	v_cndmask_b32_e64 v32, v226, v228, s[74:75]                // 0000000085E8: D1000020 012BC9E2
	v_lshrrev_b32_e32 v32, 16, v32                             // 0000000085F0: 20404090
	v_cmp_u_f32_e64 s[74:75], v61, v61                         // 0000000085F4: D048004A 00027B3D
	v_bfe_u32 v226, v61, 16, 1                                 // 0000000085FC: D1C800E2 0205213D
	v_add3_u32 v226, v61, v226, v229                           // 000000008604: D1FF00E2 0797C53D
	v_cndmask_b32_e64 v33, v226, v228, s[74:75]                // 00000000860C: D1000021 012BC9E2
	v_and_or_b32 v168, v33, v227, v32                          // 000000008614: D20100A8 0483C721
	v_cmp_u_f32_e64 s[74:75], v62, v62                         // 00000000861C: D048004A 00027D3E
	v_bfe_u32 v226, v62, 16, 1                                 // 000000008624: D1C800E2 0205213E
	v_add3_u32 v226, v62, v226, v229                           // 00000000862C: D1FF00E2 0797C53E
	v_cndmask_b32_e64 v32, v226, v228, s[74:75]                // 000000008634: D1000020 012BC9E2
	v_lshrrev_b32_e32 v32, 16, v32                             // 00000000863C: 20404090
	v_cmp_u_f32_e64 s[74:75], v63, v63                         // 000000008640: D048004A 00027F3F
	v_bfe_u32 v226, v63, 16, 1                                 // 000000008648: D1C800E2 0205213F
	v_add3_u32 v226, v63, v226, v229                           // 000000008650: D1FF00E2 0797C53F
	v_cndmask_b32_e64 v33, v226, v228, s[74:75]                // 000000008658: D1000021 012BC9E2
	v_and_or_b32 v169, v33, v227, v32                          // 000000008660: D20100A9 0483C721
	v_mfma_f32_16x16x16_bf16 v[96:99], v[118:119], a[90:91], v[96:99]// 000000008668: D3E10060 1582B576
	v_cmp_u_f32_e64 s[74:75], v64, v64                         // 000000008670: D048004A 00028140
	v_bfe_u32 v226, v64, 16, 1                                 // 000000008678: D1C800E2 02052140
	v_add3_u32 v226, v64, v226, v229                           // 000000008680: D1FF00E2 0797C540
	v_cndmask_b32_e64 v32, v226, v228, s[74:75]                // 000000008688: D1000020 012BC9E2
	v_lshrrev_b32_e32 v32, 16, v32                             // 000000008690: 20404090
	v_cmp_u_f32_e64 s[74:75], v65, v65                         // 000000008694: D048004A 00028341
	v_bfe_u32 v226, v65, 16, 1                                 // 00000000869C: D1C800E2 02052141
	v_add3_u32 v226, v65, v226, v229                           // 0000000086A4: D1FF00E2 0797C541
	v_cndmask_b32_e64 v33, v226, v228, s[74:75]                // 0000000086AC: D1000021 012BC9E2
	v_and_or_b32 v170, v33, v227, v32                          // 0000000086B4: D20100AA 0483C721
	v_cmp_u_f32_e64 s[74:75], v66, v66                         // 0000000086BC: D048004A 00028542
	v_bfe_u32 v226, v66, 16, 1                                 // 0000000086C4: D1C800E2 02052142
	v_add3_u32 v226, v66, v226, v229                           // 0000000086CC: D1FF00E2 0797C542
	v_cndmask_b32_e64 v32, v226, v228, s[74:75]                // 0000000086D4: D1000020 012BC9E2
	v_lshrrev_b32_e32 v32, 16, v32                             // 0000000086DC: 20404090
	v_cmp_u_f32_e64 s[74:75], v67, v67                         // 0000000086E0: D048004A 00028743
	v_bfe_u32 v226, v67, 16, 1                                 // 0000000086E8: D1C800E2 02052143
	v_add3_u32 v226, v67, v226, v229                           // 0000000086F0: D1FF00E2 0797C543
	v_cndmask_b32_e64 v33, v226, v228, s[74:75]                // 0000000086F8: D1000021 012BC9E2
	v_and_or_b32 v171, v33, v227, v32                          // 000000008700: D20100AB 0483C721
	v_cmp_u_f32_e64 s[74:75], v68, v68                         // 000000008708: D048004A 00028944
	v_bfe_u32 v226, v68, 16, 1                                 // 000000008710: D1C800E2 02052144
	v_add3_u32 v226, v68, v226, v229                           // 000000008718: D1FF00E2 0797C544
	v_cndmask_b32_e64 v32, v226, v228, s[74:75]                // 000000008720: D1000020 012BC9E2
	v_lshrrev_b32_e32 v32, 16, v32                             // 000000008728: 20404090
	v_cmp_u_f32_e64 s[74:75], v69, v69                         // 00000000872C: D048004A 00028B45
	v_bfe_u32 v226, v69, 16, 1                                 // 000000008734: D1C800E2 02052145
	v_add3_u32 v226, v69, v226, v229                           // 00000000873C: D1FF00E2 0797C545
	v_cndmask_b32_e64 v33, v226, v228, s[74:75]                // 000000008744: D1000021 012BC9E2
	v_and_or_b32 v172, v33, v227, v32                          // 00000000874C: D20100AC 0483C721
	v_cmp_u_f32_e64 s[74:75], v70, v70                         // 000000008754: D048004A 00028D46
	v_bfe_u32 v226, v70, 16, 1                                 // 00000000875C: D1C800E2 02052146
	v_add3_u32 v226, v70, v226, v229                           // 000000008764: D1FF00E2 0797C546
	v_cndmask_b32_e64 v32, v226, v228, s[74:75]                // 00000000876C: D1000020 012BC9E2
	v_lshrrev_b32_e32 v32, 16, v32                             // 000000008774: 20404090
	v_cmp_u_f32_e64 s[74:75], v71, v71                         // 000000008778: D048004A 00028F47
	v_bfe_u32 v226, v71, 16, 1                                 // 000000008780: D1C800E2 02052147
	v_add3_u32 v226, v71, v226, v229                           // 000000008788: D1FF00E2 0797C547
	v_cndmask_b32_e64 v33, v226, v228, s[74:75]                // 000000008790: D1000021 012BC9E2
	v_and_or_b32 v173, v33, v227, v32                          // 000000008798: D20100AD 0483C721
	v_cmp_u_f32_e64 s[74:75], v72, v72                         // 0000000087A0: D048004A 00029148
	v_bfe_u32 v226, v72, 16, 1                                 // 0000000087A8: D1C800E2 02052148
	v_add3_u32 v226, v72, v226, v229                           // 0000000087B0: D1FF00E2 0797C548
	v_cndmask_b32_e64 v32, v226, v228, s[74:75]                // 0000000087B8: D1000020 012BC9E2
	v_lshrrev_b32_e32 v32, 16, v32                             // 0000000087C0: 20404090
	v_cmp_u_f32_e64 s[74:75], v73, v73                         // 0000000087C4: D048004A 00029349
	v_bfe_u32 v226, v73, 16, 1                                 // 0000000087CC: D1C800E2 02052149
	v_add3_u32 v226, v73, v226, v229                           // 0000000087D4: D1FF00E2 0797C549
	v_cndmask_b32_e64 v33, v226, v228, s[74:75]                // 0000000087DC: D1000021 012BC9E2
	v_and_or_b32 v174, v33, v227, v32                          // 0000000087E4: D20100AE 0483C721
	v_cmp_u_f32_e64 s[74:75], v74, v74                         // 0000000087EC: D048004A 0002954A
	v_bfe_u32 v226, v74, 16, 1                                 // 0000000087F4: D1C800E2 0205214A
	v_add3_u32 v226, v74, v226, v229                           // 0000000087FC: D1FF00E2 0797C54A
	v_cndmask_b32_e64 v32, v226, v228, s[74:75]                // 000000008804: D1000020 012BC9E2
	v_lshrrev_b32_e32 v32, 16, v32                             // 00000000880C: 20404090
	v_cmp_u_f32_e64 s[74:75], v75, v75                         // 000000008810: D048004A 0002974B
	v_bfe_u32 v226, v75, 16, 1                                 // 000000008818: D1C800E2 0205214B
	v_add3_u32 v226, v75, v226, v229                           // 000000008820: D1FF00E2 0797C54B
	v_cndmask_b32_e64 v33, v226, v228, s[74:75]                // 000000008828: D1000021 012BC9E2
	v_and_or_b32 v175, v33, v227, v32                          // 000000008830: D20100AF 0483C721
	v_mfma_f32_16x16x16_bf16 v[96:99], v[120:121], a[92:93], v[96:99]// 000000008838: D3E10060 1582B978
	v_add_u32_e32 v6, s66, v6                                  // 000000008840: 680C0C42
	v_add_u32_e32 v7, s66, v7                                  // 000000008844: 680E0E42
	v_add_u32_e32 v8, s66, v8                                  // 000000008848: 68101042
	v_add_u32_e32 v9, s66, v9                                  // 00000000884C: 68121242
	v_mfma_f32_16x16x16_bf16 v[96:99], v[122:123], a[94:95], v[96:99]// 000000008850: D3E10060 1582BD7A
	s_waitcnt lgkmcnt(0)                                       // 000000008858: BF8CC07F
	s_barrier                                                  // 00000000885C: BF8A0000
	v_mfma_f32_16x16x16_bf16 v[178:181], v[124:125], v[164:165], v[178:181]// 000000008860: D3E100B2 06CB497C
	v_subrev_f32_dpp v76, v176, v76 quad_perm:[0,0,0,0] row_mask:0xf bank_mask:0xf// 000000008868: 069898FA FF0000B0
	v_subrev_f32_dpp v77, v176, v77 quad_perm:[1,1,1,1] row_mask:0xf bank_mask:0xf// 000000008870: 069A9AFA FF0055B0
	v_subrev_f32_dpp v78, v176, v78 quad_perm:[2,2,2,2] row_mask:0xf bank_mask:0xf// 000000008878: 069C9CFA FF00AAB0
	v_subrev_f32_dpp v79, v176, v79 quad_perm:[3,3,3,3] row_mask:0xf bank_mask:0xf// 000000008880: 069E9EFA FF00FFB0
	v_subrev_f32_dpp v80, v176, v80 quad_perm:[0,0,0,0] row_mask:0xf bank_mask:0xf// 000000008888: 06A0A0FA FF0000B0
	v_subrev_f32_dpp v81, v176, v81 quad_perm:[1,1,1,1] row_mask:0xf bank_mask:0xf// 000000008890: 06A2A2FA FF0055B0
	v_mfma_f32_16x16x16_bf16 v[182:185], v[126:127], v[164:165], v[182:185]// 000000008898: D3E100B6 06DB497E
	v_subrev_f32_dpp v82, v176, v82 quad_perm:[2,2,2,2] row_mask:0xf bank_mask:0xf// 0000000088A0: 06A4A4FA FF00AAB0
	v_subrev_f32_dpp v83, v176, v83 quad_perm:[3,3,3,3] row_mask:0xf bank_mask:0xf// 0000000088A8: 06A6A6FA FF00FFB0
	v_subrev_f32_dpp v84, v176, v84 quad_perm:[0,0,0,0] row_mask:0xf bank_mask:0xf// 0000000088B0: 06A8A8FA FF0000B0
	v_subrev_f32_dpp v85, v176, v85 quad_perm:[1,1,1,1] row_mask:0xf bank_mask:0xf// 0000000088B8: 06AAAAFA FF0055B0
	v_subrev_f32_dpp v86, v176, v86 quad_perm:[2,2,2,2] row_mask:0xf bank_mask:0xf// 0000000088C0: 06ACACFA FF00AAB0
	v_subrev_f32_dpp v87, v176, v87 quad_perm:[3,3,3,3] row_mask:0xf bank_mask:0xf// 0000000088C8: 06AEAEFA FF00FFB0
	v_mfma_f32_16x16x16_bf16 v[186:189], v[128:129], v[164:165], v[186:189]// 0000000088D0: D3E100BA 06EB4980
	v_mul_f32_e32 v76, v52, v76                                // 0000000088D8: 0A989934
	v_mul_f32_e32 v77, v53, v77                                // 0000000088DC: 0A9A9B35
	v_mul_f32_e32 v78, v54, v78                                // 0000000088E0: 0A9C9D36
	v_mul_f32_e32 v79, v55, v79                                // 0000000088E4: 0A9E9F37
	v_mul_f32_e32 v80, v56, v80                                // 0000000088E8: 0AA0A138
	v_mul_f32_e32 v81, v57, v81                                // 0000000088EC: 0AA2A339
	v_mfma_f32_16x16x16_bf16 v[190:193], v[130:131], v[164:165], v[190:193]// 0000000088F0: D3E100BE 06FB4982
	v_mul_f32_e32 v82, v58, v82                                // 0000000088F8: 0AA4A53A
	v_mul_f32_e32 v83, v59, v83                                // 0000000088FC: 0AA6A73B
	v_mul_f32_e32 v84, v60, v84                                // 000000008900: 0AA8A93C
	v_mul_f32_e32 v85, v61, v85                                // 000000008904: 0AAAAB3D
	v_mul_f32_e32 v86, v62, v86                                // 000000008908: 0AACAD3E
	v_mul_f32_e32 v87, v63, v87                                // 00000000890C: 0AAEAF3F
	v_mfma_f32_16x16x16_bf16 v[194:197], v[124:125], v[166:167], v[194:197]// 000000008910: D3E100C2 070B4D7C
	v_cmp_u_f32_e64 s[74:75], v76, v76                         // 000000008918: D048004A 0002994C
	v_bfe_u32 v226, v76, 16, 1                                 // 000000008920: D1C800E2 0205214C
	v_add3_u32 v226, v76, v226, v229                           // 000000008928: D1FF00E2 0797C54C
	v_cndmask_b32_e64 v32, v226, v228, s[74:75]                // 000000008930: D1000020 012BC9E2
	v_lshrrev_b32_e32 v32, 16, v32                             // 000000008938: 20404090
	v_cmp_u_f32_e64 s[74:75], v77, v77                         // 00000000893C: D048004A 00029B4D
	v_bfe_u32 v226, v77, 16, 1                                 // 000000008944: D1C800E2 0205214D
	v_add3_u32 v226, v77, v226, v229                           // 00000000894C: D1FF00E2 0797C54D
	v_cndmask_b32_e64 v33, v226, v228, s[74:75]                // 000000008954: D1000021 012BC9E2
	v_and_or_b32 v76, v33, v227, v32                           // 00000000895C: D201004C 0483C721
	v_cmp_u_f32_e64 s[74:75], v78, v78                         // 000000008964: D048004A 00029D4E
	v_bfe_u32 v226, v78, 16, 1                                 // 00000000896C: D1C800E2 0205214E
	v_add3_u32 v226, v78, v226, v229                           // 000000008974: D1FF00E2 0797C54E
	v_cndmask_b32_e64 v32, v226, v228, s[74:75]                // 00000000897C: D1000020 012BC9E2
	v_lshrrev_b32_e32 v32, 16, v32                             // 000000008984: 20404090
	v_cmp_u_f32_e64 s[74:75], v79, v79                         // 000000008988: D048004A 00029F4F
	v_bfe_u32 v226, v79, 16, 1                                 // 000000008990: D1C800E2 0205214F
	v_add3_u32 v226, v79, v226, v229                           // 000000008998: D1FF00E2 0797C54F
	v_cndmask_b32_e64 v33, v226, v228, s[74:75]                // 0000000089A0: D1000021 012BC9E2
	v_and_or_b32 v77, v33, v227, v32                           // 0000000089A8: D201004D 0483C721
	v_cmp_u_f32_e64 s[74:75], v80, v80                         // 0000000089B0: D048004A 0002A150
	v_bfe_u32 v226, v80, 16, 1                                 // 0000000089B8: D1C800E2 02052150
	v_add3_u32 v226, v80, v226, v229                           // 0000000089C0: D1FF00E2 0797C550
	v_cndmask_b32_e64 v32, v226, v228, s[74:75]                // 0000000089C8: D1000020 012BC9E2
	v_lshrrev_b32_e32 v32, 16, v32                             // 0000000089D0: 20404090
	v_cmp_u_f32_e64 s[74:75], v81, v81                         // 0000000089D4: D048004A 0002A351
	v_bfe_u32 v226, v81, 16, 1                                 // 0000000089DC: D1C800E2 02052151
	v_add3_u32 v226, v81, v226, v229                           // 0000000089E4: D1FF00E2 0797C551
	v_cndmask_b32_e64 v33, v226, v228, s[74:75]                // 0000000089EC: D1000021 012BC9E2
	v_and_or_b32 v78, v33, v227, v32                           // 0000000089F4: D201004E 0483C721
	v_cmp_u_f32_e64 s[74:75], v82, v82                         // 0000000089FC: D048004A 0002A552
	v_bfe_u32 v226, v82, 16, 1                                 // 000000008A04: D1C800E2 02052152
	v_add3_u32 v226, v82, v226, v229                           // 000000008A0C: D1FF00E2 0797C552
	v_cndmask_b32_e64 v32, v226, v228, s[74:75]                // 000000008A14: D1000020 012BC9E2
	v_lshrrev_b32_e32 v32, 16, v32                             // 000000008A1C: 20404090
	v_cmp_u_f32_e64 s[74:75], v83, v83                         // 000000008A20: D048004A 0002A753
	v_bfe_u32 v226, v83, 16, 1                                 // 000000008A28: D1C800E2 02052153
	v_add3_u32 v226, v83, v226, v229                           // 000000008A30: D1FF00E2 0797C553
	v_cndmask_b32_e64 v33, v226, v228, s[74:75]                // 000000008A38: D1000021 012BC9E2
	v_and_or_b32 v79, v33, v227, v32                           // 000000008A40: D201004F 0483C721
	v_cmp_u_f32_e64 s[74:75], v84, v84                         // 000000008A48: D048004A 0002A954
	v_bfe_u32 v226, v84, 16, 1                                 // 000000008A50: D1C800E2 02052154
	v_add3_u32 v226, v84, v226, v229                           // 000000008A58: D1FF00E2 0797C554
	v_cndmask_b32_e64 v32, v226, v228, s[74:75]                // 000000008A60: D1000020 012BC9E2
	v_lshrrev_b32_e32 v32, 16, v32                             // 000000008A68: 20404090
	v_cmp_u_f32_e64 s[74:75], v85, v85                         // 000000008A6C: D048004A 0002AB55
	v_bfe_u32 v226, v85, 16, 1                                 // 000000008A74: D1C800E2 02052155
	v_add3_u32 v226, v85, v226, v229                           // 000000008A7C: D1FF00E2 0797C555
	v_cndmask_b32_e64 v33, v226, v228, s[74:75]                // 000000008A84: D1000021 012BC9E2
	v_and_or_b32 v80, v33, v227, v32                           // 000000008A8C: D2010050 0483C721
	v_cmp_u_f32_e64 s[74:75], v86, v86                         // 000000008A94: D048004A 0002AD56
	v_bfe_u32 v226, v86, 16, 1                                 // 000000008A9C: D1C800E2 02052156
	v_add3_u32 v226, v86, v226, v229                           // 000000008AA4: D1FF00E2 0797C556
	v_cndmask_b32_e64 v32, v226, v228, s[74:75]                // 000000008AAC: D1000020 012BC9E2
	v_lshrrev_b32_e32 v32, 16, v32                             // 000000008AB4: 20404090
	v_cmp_u_f32_e64 s[74:75], v87, v87                         // 000000008AB8: D048004A 0002AF57
	v_bfe_u32 v226, v87, 16, 1                                 // 000000008AC0: D1C800E2 02052157
	v_add3_u32 v226, v87, v226, v229                           // 000000008AC8: D1FF00E2 0797C557
	v_cndmask_b32_e64 v33, v226, v228, s[74:75]                // 000000008AD0: D1000021 012BC9E2
	v_and_or_b32 v81, v33, v227, v32                           // 000000008AD8: D2010051 0483C721
	v_mfma_f32_16x16x16_bf16 v[198:201], v[126:127], v[166:167], v[198:201]// 000000008AE0: D3E100C6 071B4D7E
	v_mov_b32_dpp v18, v76 quad_perm:[1,0,3,2] row_mask:0xf bank_mask:0xf// 000000008AE8: 7E2402FA FF00B14C
	v_perm_b32 v52, v18, v76, v17                              // 000000008AF0: D1ED0034 04469912
	v_mov_b32_dpp v18, v77 quad_perm:[1,0,3,2] row_mask:0xf bank_mask:0xf// 000000008AF8: 7E2402FA FF00B14D
	v_perm_b32 v53, v18, v77, v17                              // 000000008B00: D1ED0035 04469B12
	v_mov_b32_dpp v18, v78 quad_perm:[1,0,3,2] row_mask:0xf bank_mask:0xf// 000000008B08: 7E2402FA FF00B14E
	v_perm_b32 v54, v18, v78, v17                              // 000000008B10: D1ED0036 04469D12
	v_mfma_f32_16x16x16_bf16 v[202:205], v[128:129], v[166:167], v[202:205]// 000000008B18: D3E100CA 072B4D80
	ds_write_b32 v20, v52 offset:17408                         // 000000008B20: D81A4400 00003414
	ds_write_b32 v20, v53 offset:17952                         // 000000008B28: D81A4620 00003514
	v_mfma_f32_16x16x16_bf16 v[206:209], v[130:131], v[166:167], v[206:209]// 000000008B30: D3E100CE 073B4D82
	v_mov_b32_dpp v18, v79 quad_perm:[1,0,3,2] row_mask:0xf bank_mask:0xf// 000000008B38: 7E2402FA FF00B14F
	v_perm_b32 v55, v18, v79, v17                              // 000000008B40: D1ED0037 04469F12
	v_mov_b32_dpp v18, v80 quad_perm:[1,0,3,2] row_mask:0xf bank_mask:0xf// 000000008B48: 7E2402FA FF00B150
	v_perm_b32 v56, v18, v80, v17                              // 000000008B50: D1ED0038 0446A112
	v_mov_b32_dpp v18, v81 quad_perm:[1,0,3,2] row_mask:0xf bank_mask:0xf// 000000008B58: 7E2402FA FF00B151
	v_perm_b32 v57, v18, v81, v17                              // 000000008B60: D1ED0039 0446A312
	v_mfma_f32_16x16x16_bf16 v[210:213], v[124:125], v[168:169], v[210:213]// 000000008B68: D3E100D2 074B517C
	ds_write_b32 v20, v54 offset:19712                         // 000000008B70: D81A4D00 00003614
	ds_write_b32 v20, v55 offset:20256                         // 000000008B78: D81A4F20 00003714
	v_mfma_f32_16x16x16_bf16 v[214:217], v[126:127], v[168:169], v[214:217]// 000000008B80: D3E100D6 075B517E
	v_subrev_f32_dpp v88, v177, v88 quad_perm:[0,0,0,0] row_mask:0xf bank_mask:0xf// 000000008B88: 06B0B0FA FF0000B1
	v_subrev_f32_dpp v89, v177, v89 quad_perm:[1,1,1,1] row_mask:0xf bank_mask:0xf// 000000008B90: 06B2B2FA FF0055B1
	v_subrev_f32_dpp v90, v177, v90 quad_perm:[2,2,2,2] row_mask:0xf bank_mask:0xf// 000000008B98: 06B4B4FA FF00AAB1
	v_subrev_f32_dpp v91, v177, v91 quad_perm:[3,3,3,3] row_mask:0xf bank_mask:0xf// 000000008BA0: 06B6B6FA FF00FFB1
	v_subrev_f32_dpp v92, v177, v92 quad_perm:[0,0,0,0] row_mask:0xf bank_mask:0xf// 000000008BA8: 06B8B8FA FF0000B1
	v_subrev_f32_dpp v93, v177, v93 quad_perm:[1,1,1,1] row_mask:0xf bank_mask:0xf// 000000008BB0: 06BABAFA FF0055B1
	v_mfma_f32_16x16x16_bf16 v[218:221], v[128:129], v[168:169], v[218:221]// 000000008BB8: D3E100DA 076B5180
	ds_write_b32 v20, v56 offset:22016                         // 000000008BC0: D81A5600 00003814
	ds_write_b32 v20, v57 offset:22560                         // 000000008BC8: D81A5820 00003914
	v_mfma_f32_16x16x16_bf16 v[222:225], v[130:131], v[168:169], v[222:225]// 000000008BD0: D3E100DE 077B5182
	v_subrev_f32_dpp v94, v177, v94 quad_perm:[2,2,2,2] row_mask:0xf bank_mask:0xf// 000000008BD8: 06BCBCFA FF00AAB1
	v_subrev_f32_dpp v95, v177, v95 quad_perm:[3,3,3,3] row_mask:0xf bank_mask:0xf// 000000008BE0: 06BEBEFA FF00FFB1
	v_subrev_f32_dpp v96, v177, v96 quad_perm:[0,0,0,0] row_mask:0xf bank_mask:0xf// 000000008BE8: 06C0C0FA FF0000B1
	v_subrev_f32_dpp v97, v177, v97 quad_perm:[1,1,1,1] row_mask:0xf bank_mask:0xf// 000000008BF0: 06C2C2FA FF0055B1
	v_subrev_f32_dpp v98, v177, v98 quad_perm:[2,2,2,2] row_mask:0xf bank_mask:0xf// 000000008BF8: 06C4C4FA FF00AAB1
	v_subrev_f32_dpp v99, v177, v99 quad_perm:[3,3,3,3] row_mask:0xf bank_mask:0xf// 000000008C00: 06C6C6FA FF00FFB1
	v_mfma_f32_16x16x16_bf16 v[178:181], v[132:133], v[170:171], v[178:181]// 000000008C08: D3E100B2 06CB5584
	v_mul_f32_e32 v88, v64, v88                                // 000000008C10: 0AB0B140
	v_mul_f32_e32 v89, v65, v89                                // 000000008C14: 0AB2B341
	v_mul_f32_e32 v90, v66, v90                                // 000000008C18: 0AB4B542
	v_mul_f32_e32 v91, v67, v91                                // 000000008C1C: 0AB6B743
	v_mul_f32_e32 v92, v68, v92                                // 000000008C20: 0AB8B944
	v_mul_f32_e32 v93, v69, v93                                // 000000008C24: 0ABABB45
	v_mfma_f32_16x16x16_bf16 v[182:185], v[134:135], v[170:171], v[182:185]// 000000008C28: D3E100B6 06DB5586
	v_mul_f32_e32 v94, v70, v94                                // 000000008C30: 0ABCBD46
	v_mul_f32_e32 v95, v71, v95                                // 000000008C34: 0ABEBF47
	v_mul_f32_e32 v96, v72, v96                                // 000000008C38: 0AC0C148
	v_mul_f32_e32 v97, v73, v97                                // 000000008C3C: 0AC2C349
	v_mul_f32_e32 v98, v74, v98                                // 000000008C40: 0AC4C54A
	v_mul_f32_e32 v99, v75, v99                                // 000000008C44: 0AC6C74B
	v_mfma_f32_16x16x16_bf16 v[186:189], v[136:137], v[170:171], v[186:189]// 000000008C48: D3E100BA 06EB5588
	v_cmp_u_f32_e64 s[74:75], v88, v88                         // 000000008C50: D048004A 0002B158
	v_bfe_u32 v226, v88, 16, 1                                 // 000000008C58: D1C800E2 02052158
	v_add3_u32 v226, v88, v226, v229                           // 000000008C60: D1FF00E2 0797C558
	v_cndmask_b32_e64 v32, v226, v228, s[74:75]                // 000000008C68: D1000020 012BC9E2
	v_lshrrev_b32_e32 v32, 16, v32                             // 000000008C70: 20404090
	v_cmp_u_f32_e64 s[74:75], v89, v89                         // 000000008C74: D048004A 0002B359
	v_bfe_u32 v226, v89, 16, 1                                 // 000000008C7C: D1C800E2 02052159
	v_add3_u32 v226, v89, v226, v229                           // 000000008C84: D1FF00E2 0797C559
	v_cndmask_b32_e64 v33, v226, v228, s[74:75]                // 000000008C8C: D1000021 012BC9E2
	v_and_or_b32 v82, v33, v227, v32                           // 000000008C94: D2010052 0483C721
	v_cmp_u_f32_e64 s[74:75], v90, v90                         // 000000008C9C: D048004A 0002B55A
	v_bfe_u32 v226, v90, 16, 1                                 // 000000008CA4: D1C800E2 0205215A
	v_add3_u32 v226, v90, v226, v229                           // 000000008CAC: D1FF00E2 0797C55A
	v_cndmask_b32_e64 v32, v226, v228, s[74:75]                // 000000008CB4: D1000020 012BC9E2
	v_lshrrev_b32_e32 v32, 16, v32                             // 000000008CBC: 20404090
	v_cmp_u_f32_e64 s[74:75], v91, v91                         // 000000008CC0: D048004A 0002B75B
	v_bfe_u32 v226, v91, 16, 1                                 // 000000008CC8: D1C800E2 0205215B
	v_add3_u32 v226, v91, v226, v229                           // 000000008CD0: D1FF00E2 0797C55B
	v_cndmask_b32_e64 v33, v226, v228, s[74:75]                // 000000008CD8: D1000021 012BC9E2
	v_and_or_b32 v83, v33, v227, v32                           // 000000008CE0: D2010053 0483C721
	v_cmp_u_f32_e64 s[74:75], v92, v92                         // 000000008CE8: D048004A 0002B95C
	v_bfe_u32 v226, v92, 16, 1                                 // 000000008CF0: D1C800E2 0205215C
	v_add3_u32 v226, v92, v226, v229                           // 000000008CF8: D1FF00E2 0797C55C
	v_cndmask_b32_e64 v32, v226, v228, s[74:75]                // 000000008D00: D1000020 012BC9E2
	v_lshrrev_b32_e32 v32, 16, v32                             // 000000008D08: 20404090
	v_cmp_u_f32_e64 s[74:75], v93, v93                         // 000000008D0C: D048004A 0002BB5D
	v_bfe_u32 v226, v93, 16, 1                                 // 000000008D14: D1C800E2 0205215D
	v_add3_u32 v226, v93, v226, v229                           // 000000008D1C: D1FF00E2 0797C55D
	v_cndmask_b32_e64 v33, v226, v228, s[74:75]                // 000000008D24: D1000021 012BC9E2
	v_and_or_b32 v84, v33, v227, v32                           // 000000008D2C: D2010054 0483C721
	v_cmp_u_f32_e64 s[74:75], v94, v94                         // 000000008D34: D048004A 0002BD5E
	v_bfe_u32 v226, v94, 16, 1                                 // 000000008D3C: D1C800E2 0205215E
	v_add3_u32 v226, v94, v226, v229                           // 000000008D44: D1FF00E2 0797C55E
	v_cndmask_b32_e64 v32, v226, v228, s[74:75]                // 000000008D4C: D1000020 012BC9E2
	v_lshrrev_b32_e32 v32, 16, v32                             // 000000008D54: 20404090
	v_cmp_u_f32_e64 s[74:75], v95, v95                         // 000000008D58: D048004A 0002BF5F
	v_bfe_u32 v226, v95, 16, 1                                 // 000000008D60: D1C800E2 0205215F
	v_add3_u32 v226, v95, v226, v229                           // 000000008D68: D1FF00E2 0797C55F
	v_cndmask_b32_e64 v33, v226, v228, s[74:75]                // 000000008D70: D1000021 012BC9E2
	v_and_or_b32 v85, v33, v227, v32                           // 000000008D78: D2010055 0483C721
	v_cmp_u_f32_e64 s[74:75], v96, v96                         // 000000008D80: D048004A 0002C160
	v_bfe_u32 v226, v96, 16, 1                                 // 000000008D88: D1C800E2 02052160
	v_add3_u32 v226, v96, v226, v229                           // 000000008D90: D1FF00E2 0797C560
	v_cndmask_b32_e64 v32, v226, v228, s[74:75]                // 000000008D98: D1000020 012BC9E2
	v_lshrrev_b32_e32 v32, 16, v32                             // 000000008DA0: 20404090
	v_cmp_u_f32_e64 s[74:75], v97, v97                         // 000000008DA4: D048004A 0002C361
	v_bfe_u32 v226, v97, 16, 1                                 // 000000008DAC: D1C800E2 02052161
	v_add3_u32 v226, v97, v226, v229                           // 000000008DB4: D1FF00E2 0797C561
	v_cndmask_b32_e64 v33, v226, v228, s[74:75]                // 000000008DBC: D1000021 012BC9E2
	v_and_or_b32 v86, v33, v227, v32                           // 000000008DC4: D2010056 0483C721
	v_cmp_u_f32_e64 s[74:75], v98, v98                         // 000000008DCC: D048004A 0002C562
	v_bfe_u32 v226, v98, 16, 1                                 // 000000008DD4: D1C800E2 02052162
	v_add3_u32 v226, v98, v226, v229                           // 000000008DDC: D1FF00E2 0797C562
	v_cndmask_b32_e64 v32, v226, v228, s[74:75]                // 000000008DE4: D1000020 012BC9E2
	v_lshrrev_b32_e32 v32, 16, v32                             // 000000008DEC: 20404090
	v_cmp_u_f32_e64 s[74:75], v99, v99                         // 000000008DF0: D048004A 0002C763
	v_bfe_u32 v226, v99, 16, 1                                 // 000000008DF8: D1C800E2 02052163
	v_add3_u32 v226, v99, v226, v229                           // 000000008E00: D1FF00E2 0797C563
	v_cndmask_b32_e64 v33, v226, v228, s[74:75]                // 000000008E08: D1000021 012BC9E2
	v_and_or_b32 v87, v33, v227, v32                           // 000000008E10: D2010057 0483C721
	v_mfma_f32_16x16x16_bf16 v[190:193], v[138:139], v[170:171], v[190:193]// 000000008E18: D3E100BE 06FB558A
	v_mov_b32_dpp v18, v82 quad_perm:[1,0,3,2] row_mask:0xf bank_mask:0xf// 000000008E20: 7E2402FA FF00B152
	v_perm_b32 v58, v18, v82, v17                              // 000000008E28: D1ED003A 0446A512
	v_mov_b32_dpp v18, v83 quad_perm:[1,0,3,2] row_mask:0xf bank_mask:0xf// 000000008E30: 7E2402FA FF00B153
	v_perm_b32 v59, v18, v83, v17                              // 000000008E38: D1ED003B 0446A712
	v_mov_b32_dpp v18, v84 quad_perm:[1,0,3,2] row_mask:0xf bank_mask:0xf// 000000008E40: 7E2402FA FF00B154
	v_perm_b32 v60, v18, v84, v17                              // 000000008E48: D1ED003C 0446A912
	v_mfma_f32_16x16x16_bf16 v[194:197], v[132:133], v[172:173], v[194:197]// 000000008E50: D3E100C2 070B5984
	ds_write_b32 v20, v58 offset:24320                         // 000000008E58: D81A5F00 00003A14
	ds_write_b32 v20, v59 offset:24864                         // 000000008E60: D81A6120 00003B14
	v_mfma_f32_16x16x16_bf16 v[198:201], v[134:135], v[172:173], v[198:201]// 000000008E68: D3E100C6 071B5986
	v_mov_b32_dpp v18, v85 quad_perm:[1,0,3,2] row_mask:0xf bank_mask:0xf// 000000008E70: 7E2402FA FF00B155
	v_perm_b32 v61, v18, v85, v17                              // 000000008E78: D1ED003D 0446AB12
	v_mov_b32_dpp v18, v86 quad_perm:[1,0,3,2] row_mask:0xf bank_mask:0xf// 000000008E80: 7E2402FA FF00B156
	v_perm_b32 v62, v18, v86, v17                              // 000000008E88: D1ED003E 0446AD12
	v_mov_b32_dpp v18, v87 quad_perm:[1,0,3,2] row_mask:0xf bank_mask:0xf// 000000008E90: 7E2402FA FF00B157
	v_perm_b32 v63, v18, v87, v17                              // 000000008E98: D1ED003F 0446AF12
	v_mfma_f32_16x16x16_bf16 v[202:205], v[136:137], v[172:173], v[202:205]// 000000008EA0: D3E100CA 072B5988
	ds_write_b32 v20, v60 offset:26624                         // 000000008EA8: D81A6800 00003C14
	ds_write_b32 v20, v61 offset:27168                         // 000000008EB0: D81A6A20 00003D14
	ds_write_b32 v20, v62 offset:28928                         // 000000008EB8: D81A7100 00003E14
	ds_write_b32 v20, v63 offset:29472                         // 000000008EC0: D81A7320 00003F14
	v_mfma_f32_16x16x16_bf16 v[206:209], v[138:139], v[172:173], v[206:209]// 000000008EC8: D3E100CE 073B598A
	v_mfma_f32_16x16x16_bf16 v[210:213], v[132:133], v[174:175], v[210:213]// 000000008ED0: D3E100D2 074B5D84
	ds_write_b32 v15, v100 offset:4352                         // 000000008ED8: D81A1100 0000640F
	ds_write_b32 v15, v101 offset:5408                         // 000000008EE0: D81A1520 0000650F
	v_mfma_f32_16x16x16_bf16 v[214:217], v[134:135], v[174:175], v[214:217]// 000000008EE8: D3E100D6 075B5D86
	v_mfma_f32_16x16x16_bf16 v[218:221], v[136:137], v[174:175], v[218:221]// 000000008EF0: D3E100DA 076B5D88
	ds_write_b32 v15, v102 offset:6528                         // 000000008EF8: D81A1980 0000660F
	ds_write_b32 v15, v103 offset:7584                         // 000000008F00: D81A1DA0 0000670F
	v_mfma_f32_16x16x16_bf16 v[222:225], v[138:139], v[174:175], v[222:225]// 000000008F08: D3E100DE 077B5D8A
	s_nop 0                                                    // 000000008F10: BF800000
	s_nop 0                                                    // 000000008F14: BF800000
	s_nop 0                                                    // 000000008F18: BF800000
	s_barrier                                                  // 000000008F1C: BF8A0000
	v_mfma_f32_16x16x16_bf16 a[112:115], a[96:97], v[76:77], a[112:115]// 000000008F20: D3E18070 0DC29960
	ds_read_b32 v140, v23 offset:39936                         // 000000008F28: D86C9C00 8C000017
	ds_read_b32 v144, v23 offset:40000                         // 000000008F30: D86C9C40 90000017
	ds_read_b32 v176, v23 offset:40192                         // 000000008F38: D86C9D00 B0000017
	ds_read_b32 v177, v23 offset:40256                         // 000000008F40: D86C9D40 B1000017
	v_mfma_f32_16x16x16_bf16 a[116:119], a[98:99], v[76:77], a[116:119]// 000000008F48: D3E18074 0DD29962
	buffer_atomic_add_f32 v156, v6, s[32:35], 0 idxen          // 000000008F50: E1342000 80089C06
	v_mfma_f32_16x16x16_bf16 a[120:123], a[100:101], v[76:77], a[120:123]// 000000008F58: D3E18078 0DE29964
	s_waitcnt lgkmcnt(8)                                       // 000000008F60: BF8CC87F
	s_barrier                                                  // 000000008F64: BF8A0000
	v_mfma_f32_16x16x16_bf16 a[124:127], a[102:103], v[76:77], a[124:127]// 000000008F68: D3E1807C 0DF29966
	v_mfma_f32_16x16x16_bf16 a[128:131], a[96:97], v[78:79], a[128:131]// 000000008F70: D3E18080 0E029D60
	ds_read_b128 v[52:55], v19 offset:17408                    // 000000008F78: D9FE4400 34000013
	v_mfma_f32_16x16x16_bf16 a[132:135], a[98:99], v[78:79], a[132:135]// 000000008F80: D3E18084 0E129D62
	v_mfma_f32_16x16x16_bf16 a[136:139], a[100:101], v[78:79], a[136:139]// 000000008F88: D3E18088 0E229D64
	ds_read_b128 v[56:59], v19 offset:18560                    // 000000008F90: D9FE4880 38000013
	v_mfma_f32_16x16x16_bf16 a[140:143], a[102:103], v[78:79], a[140:143]// 000000008F98: D3E1808C 0E329D66
	buffer_atomic_add_f32 v157, v7, s[32:35], 0 idxen          // 000000008FA0: E1342000 80089D07
	v_mfma_f32_16x16x16_bf16 a[144:147], a[96:97], v[80:81], a[144:147]// 000000008FA8: D3E18090 0E42A160
	ds_read_b128 v[60:63], v19 offset:19712                    // 000000008FB0: D9FE4D00 3C000013
	v_mfma_f32_16x16x16_bf16 a[148:151], a[98:99], v[80:81], a[148:151]// 000000008FB8: D3E18094 0E52A162
	v_mfma_f32_16x16x16_bf16 a[152:155], a[100:101], v[80:81], a[152:155]// 000000008FC0: D3E18098 0E62A164
	ds_read_b128 v[64:67], v19 offset:20864                    // 000000008FC8: D9FE5180 40000013
	v_mfma_f32_16x16x16_bf16 a[156:159], a[102:103], v[80:81], a[156:159]// 000000008FD0: D3E1809C 0E72A166
	v_mfma_f32_16x16x16_bf16 a[112:115], a[104:105], v[82:83], a[112:115]// 000000008FD8: D3E18070 0DC2A568
	ds_read_b128 v[68:71], v19 offset:22016                    // 000000008FE0: D9FE5600 44000013
	v_mfma_f32_16x16x16_bf16 a[116:119], a[106:107], v[82:83], a[116:119]// 000000008FE8: D3E18074 0DD2A56A
	buffer_atomic_add_f32 v158, v6, s[32:35], 0 idxen offset:128// 000000008FF0: E1342080 80089E06
	v_mfma_f32_16x16x16_bf16 a[120:123], a[108:109], v[82:83], a[120:123]// 000000008FF8: D3E18078 0DE2A56C
	ds_read_b128 v[72:75], v19 offset:23168                    // 000000009000: D9FE5A80 48000013
	v_mfma_f32_16x16x16_bf16 a[124:127], a[110:111], v[82:83], a[124:127]// 000000009008: D3E1807C 0DF2A56E
	v_mfma_f32_16x16x16_bf16 a[128:131], a[104:105], v[84:85], a[128:131]// 000000009010: D3E18080 0E02A968
	ds_write_b32 v15, v104 offset:13056                        // 000000009018: D81A3300 0000680F
	v_mfma_f32_16x16x16_bf16 a[132:135], a[106:107], v[84:85], a[132:135]// 000000009020: D3E18084 0E12A96A
	v_mfma_f32_16x16x16_bf16 a[136:139], a[108:109], v[84:85], a[136:139]// 000000009028: D3E18088 0E22A96C
	ds_write_b32 v15, v105 offset:14112                        // 000000009030: D81A3720 0000690F
	v_mfma_f32_16x16x16_bf16 a[140:143], a[110:111], v[84:85], a[140:143]// 000000009038: D3E1808C 0E32A96E
	buffer_atomic_add_f32 v159, v7, s[32:35], 0 idxen offset:128// 000000009040: E1342080 80089F07
	v_mfma_f32_16x16x16_bf16 a[144:147], a[104:105], v[86:87], a[144:147]// 000000009048: D3E18090 0E42AD68
	ds_write_b32 v15, v106 offset:15232                        // 000000009050: D81A3B80 00006A0F
	v_mfma_f32_16x16x16_bf16 a[148:151], a[106:107], v[86:87], a[148:151]// 000000009058: D3E18094 0E52AD6A
	v_mfma_f32_16x16x16_bf16 a[152:155], a[108:109], v[86:87], a[152:155]// 000000009060: D3E18098 0E62AD6C
	ds_write_b32 v15, v107 offset:16288                        // 000000009068: D81A3FA0 00006B0F
	v_mfma_f32_16x16x16_bf16 a[156:159], a[110:111], v[86:87], a[156:159]// 000000009070: D3E1809C 0E72AD6E
	s_waitcnt vmcnt(8) lgkmcnt(4)                              // 000000009078: BF8C0478
	s_barrier                                                  // 00000000907C: BF8A0000
	v_mfma_f32_16x16x16_bf16 v[148:151], v[52:53], a[24:25], 0 // 000000009080: D3E10094 12023134
	ds_read_b128 a[96:99], v12                                 // 000000009088: DBFE0000 6000000C
	buffer_load_dword v40, v1, s[8:11], 0 idxen                // 000000009090: E0502000 80022801
	v_mfma_f32_16x16x16_bf16 v[148:151], v[54:55], a[28:29], v[148:151]// 000000009098: D3E10094 16523936
	v_mul_f32_e32 v140, s48, v140                              // 0000000090A0: 0B191830
	v_mul_f32_e32 v144, s48, v144                              // 0000000090A4: 0B212030
	s_nop 0                                                    // 0000000090A8: BF800000
	v_mfma_f32_16x16x16_bf16 v[148:151], v[56:57], a[32:33], v[148:151]// 0000000090AC: D3E10094 16524138
	ds_read_b128 a[100:103], v12 offset:512                    // 0000000090B4: DBFE0200 6400000C
	buffer_load_dword v41, v2, s[8:11], 0 idxen                // 0000000090BC: E0502000 80022902
	v_mfma_f32_16x16x16_bf16 v[148:151], v[58:59], a[36:37], v[148:151]// 0000000090C4: D3E10094 1652493A
	v_mfma_f32_16x16x16_bf16 v[148:151], v[60:61], a[40:41], v[148:151]// 0000000090CC: D3E10094 1652513C
	ds_read_b128 a[104:107], v12 offset:2176                   // 0000000090D4: DBFE0880 6800000C
	buffer_load_dword v42, v3, s[8:11], 0 idxen                // 0000000090DC: E0502000 80022A03
	v_mfma_f32_16x16x16_bf16 v[148:151], v[62:63], a[44:45], v[148:151]// 0000000090E4: D3E10094 1652593E
	v_perm_b32 v100, v37, v36, s63                             // 0000000090EC: D1ED0064 00FE4925
	v_perm_b32 v101, v37, v36, s64                             // 0000000090F4: D1ED0065 01024925
	v_mfma_f32_16x16x16_bf16 v[148:151], v[64:65], a[48:49], v[148:151]// 0000000090FC: D3E10094 16526140
	ds_read_b128 a[108:111], v12 offset:2688                   // 000000009104: DBFE0A80 6C00000C
	buffer_load_dword v43, v4, s[8:11], 0 idxen                // 00000000910C: E0502000 80022B04
	v_mfma_f32_16x16x16_bf16 v[148:151], v[66:67], a[52:53], v[148:151]// 000000009114: D3E10094 16526942
	v_perm_b32 v102, v39, v38, s63                             // 00000000911C: D1ED0066 00FE4D27
	v_perm_b32 v103, v39, v38, s64                             // 000000009124: D1ED0067 01024D27
	v_mfma_f32_16x16x16_bf16 v[148:151], v[68:69], a[56:57], v[148:151]// 00000000912C: D3E10094 16527144
	ds_read_b128 v[108:111], v12 offset:8704                   // 000000009134: D9FE2200 6C00000C
	buffer_load_dword v48, v231, s[20:23], 0 idxen             // 00000000913C: E0502000 800530E7
	v_mfma_f32_16x16x16_bf16 v[148:151], v[70:71], a[60:61], v[148:151]// 000000009144: D3E10094 16527946
	v_perm_b32 v104, v45, v44, s63                             // 00000000914C: D1ED0068 00FE592D
	v_perm_b32 v105, v45, v44, s64                             // 000000009154: D1ED0069 0102592D
	v_mfma_f32_16x16x16_bf16 v[148:151], v[72:73], a[64:65], v[148:151]// 00000000915C: D3E10094 16528148
	ds_read_b128 v[112:115], v12 offset:9216                   // 000000009164: D9FE2400 7000000C
	buffer_load_dword v49, v232, s[20:23], 0 idxen             // 00000000916C: E0502000 800531E8
	v_mfma_f32_16x16x16_bf16 v[148:151], v[74:75], a[68:69], v[148:151]// 000000009174: D3E10094 1652894A
	v_perm_b32 v106, v47, v46, s63                             // 00000000917C: D1ED006A 00FE5D2F
	v_perm_b32 v107, v47, v46, s64                             // 000000009184: D1ED006B 01025D2F
	v_mfma_f32_16x16x16_bf16 v[152:155], v[52:53], a[26:27], 0 // 00000000918C: D3E10098 12023534
	ds_read_b128 v[116:119], v12 offset:10880                  // 000000009194: D9FE2A80 7400000C
	buffer_load_dword v50, v233, s[20:23], 0 idxen             // 00000000919C: E0502000 800532E9
	v_mfma_f32_16x16x16_bf16 v[152:155], v[54:55], a[30:31], v[152:155]// 0000000091A4: D3E10098 16623D36
	v_mov_b32_dpp v143, v140 quad_perm:[3,3,3,3] row_mask:0xf bank_mask:0xf// 0000000091AC: 7F1E02FA FF00FF8C
	v_mov_b32_dpp v142, v140 quad_perm:[2,2,2,2] row_mask:0xf bank_mask:0xf// 0000000091B4: 7F1C02FA FF00AA8C
	v_mov_b32_dpp v141, v140 quad_perm:[1,1,1,1] row_mask:0xf bank_mask:0xf// 0000000091BC: 7F1A02FA FF00558C
	v_mov_b32_dpp v140, v140 quad_perm:[0,0,0,0] row_mask:0xf bank_mask:0xf// 0000000091C4: 7F1802FA FF00008C
	v_mfma_f32_16x16x16_bf16 v[152:155], v[56:57], a[34:35], v[152:155]// 0000000091CC: D3E10098 16624538
	ds_read_b128 v[120:123], v12 offset:11392                  // 0000000091D4: D9FE2C80 7800000C
	buffer_load_dword v51, v234, s[20:23], 0 idxen             // 0000000091DC: E0502000 800533EA
	v_mfma_f32_16x16x16_bf16 v[152:155], v[58:59], a[38:39], v[152:155]// 0000000091E4: D3E10098 16624D3A
	v_mov_b32_dpp v147, v144 quad_perm:[3,3,3,3] row_mask:0xf bank_mask:0xf// 0000000091EC: 7F2602FA FF00FF90
	v_mov_b32_dpp v146, v144 quad_perm:[2,2,2,2] row_mask:0xf bank_mask:0xf// 0000000091F4: 7F2402FA FF00AA90
	v_mov_b32_dpp v145, v144 quad_perm:[1,1,1,1] row_mask:0xf bank_mask:0xf// 0000000091FC: 7F2202FA FF005590
	v_mov_b32_dpp v144, v144 quad_perm:[0,0,0,0] row_mask:0xf bank_mask:0xf// 000000009204: 7F2002FA FF000090
	s_add_u32 s60, 0x80, s59                                   // 00000000920C: 803C3BFF 00000080
	v_mfma_f32_16x16x16_bf16 v[152:155], v[60:61], a[42:43], v[152:155]// 000000009214: D3E10098 1662553C
	buffer_load_dword v11, s[24:27], 0 idxen lds               // 00000000921C: E0512000 8006000B
	v_mfma_f32_16x16x16_bf16 v[152:155], v[62:63], a[46:47], v[152:155]// 000000009224: D3E10098 16625D3E
	s_cmp_lt_u32 s60, s58                                      // 00000000922C: BF0A3A3C
	s_cselect_b32 s68, s68, 0                                  // 000000009230: 85448044
	s_cselect_b32 s95, s95, 0                                  // 000000009234: 855F805F
	s_cselect_b32 s69, s69, 0                                  // 000000009238: 85458045
	v_mfma_f32_16x16x16_bf16 v[152:155], v[64:65], a[50:51], v[152:155]// 00000000923C: D3E10098 16626540
	v_add_u32_e32 v1, s68, v1                                  // 000000009244: 68020244
	v_add_u32_e32 v2, s68, v2                                  // 000000009248: 68040444
	v_add_u32_e32 v3, s68, v3                                  // 00000000924C: 68060644
	v_add_u32_e32 v4, s68, v4                                  // 000000009250: 68080844
	v_mfma_f32_16x16x16_bf16 v[152:155], v[66:67], a[54:55], v[152:155]// 000000009254: D3E10098 16626D42
	v_add_u32_e32 v231, s95, v231                              // 00000000925C: 69CFCE5F
	v_add_u32_e32 v232, s95, v232                              // 000000009260: 69D1D05F
	v_add_u32_e32 v233, s95, v233                              // 000000009264: 69D3D25F
	v_add_u32_e32 v234, s95, v234                              // 000000009268: 69D5D45F
	v_mfma_f32_16x16x16_bf16 v[152:155], v[68:69], a[58:59], v[152:155]// 00000000926C: D3E10098 16627544
	s_mov_b32 m0, s76                                          // 000000009274: BEFC004C
	v_add_u32_e32 v11, s69, v11                                // 000000009278: 68161645
	v_mfma_f32_16x16x16_bf16 v[152:155], v[70:71], a[62:63], v[152:155]// 00000000927C: D3E10098 16627D46
	s_cmp_ge_u32 s59, 32                                       // 000000009284: BF09A03B
	s_cselect_b32 s66, s67, s66                                // 000000009288: 85424243
	v_mfma_f32_16x16x16_bf16 v[152:155], v[72:73], a[66:67], v[152:155]// 00000000928C: D3E10098 16628548
	s_addk_i32 s59, 0x20                                       // 000000009294: B73B0020
	s_nop 0                                                    // 000000009298: BF800000
	s_cmp_lt_i32 s59, s58                                      // 00000000929C: BF043A3B
	v_mfma_f32_16x16x16_bf16 v[152:155], v[74:75], a[70:71], v[152:155]// 0000000092A0: D3E10098 16628D4A
	s_cbranch_scc0 label_0FE1                                  // 0000000092A8: BF84FB24
	s_waitcnt lgkmcnt(0)                                       // 0000000092AC: BF8CC07F
	s_barrier                                                  // 0000000092B0: BF8A0000
	v_mfma_f32_16x16x16_bf16 v[52:55], a[96:97], a[0:1], 0     // 0000000092B4: D3E10034 1A020160
	v_mul_f32_e32 v148, s47, v148                              // 0000000092BC: 0B29282F
	v_mul_f32_e32 v149, s47, v149                              // 0000000092C0: 0B2B2A2F
	v_mfma_f32_16x16x16_bf16 v[52:55], a[98:99], a[2:3], v[52:55]// 0000000092C4: D3E10034 1CD20562
	ds_write_b32 v13, v44 offset:8704                          // 0000000092CC: D81A2200 00002C0D
	ds_write_b32 v13, v45 offset:9760                          // 0000000092D4: D81A2620 00002D0D
	v_mfma_f32_16x16x16_bf16 v[52:55], a[100:101], a[4:5], v[52:55]// 0000000092DC: D3E10034 1CD20964
	v_mul_f32_e32 v150, s47, v150                              // 0000000092E4: 0B2D2C2F
	v_mul_f32_e32 v151, s47, v151                              // 0000000092E8: 0B2F2E2F
	v_mfma_f32_16x16x16_bf16 v[52:55], a[102:103], a[6:7], v[52:55]// 0000000092EC: D3E10034 1CD20D66
	ds_write_b32 v13, v46 offset:10880                         // 0000000092F4: D81A2A80 00002E0D
	ds_write_b32 v13, v47 offset:11936                         // 0000000092FC: D81A2EA0 00002F0D
	v_mfma_f32_16x16x16_bf16 v[56:59], a[96:97], a[8:9], 0     // 000000009304: D3E10038 1A021160
	v_mul_f32_e32 v152, s47, v152                              // 00000000930C: 0B31302F
	v_mul_f32_e32 v153, s47, v153                              // 000000009310: 0B33322F
	v_mfma_f32_16x16x16_bf16 v[56:59], a[98:99], a[10:11], v[56:59]// 000000009314: D3E10038 1CE21562
	ds_write_b64 v22, v[148:149] offset:31232                  // 00000000931C: D89A7A00 00009416
	v_mfma_f32_16x16x16_bf16 v[56:59], a[100:101], a[12:13], v[56:59]// 000000009324: D3E10038 1CE21964
	v_mul_f32_e32 v154, s47, v154                              // 00000000932C: 0B35342F
	v_mul_f32_e32 v155, s47, v155                              // 000000009330: 0B37362F
	v_mfma_f32_16x16x16_bf16 v[56:59], a[102:103], a[14:15], v[56:59]// 000000009334: D3E10038 1CE21D66
	ds_write_b64 v22, v[150:151] offset:31744                  // 00000000933C: D89A7C00 00009616
	v_mfma_f32_16x16x16_bf16 v[60:63], a[96:97], a[16:17], 0   // 000000009344: D3E1003C 1A022160
	buffer_atomic_add_f32 v160, v8, s[32:35], 0 idxen          // 00000000934C: E1342000 8008A008
	v_mfma_f32_16x16x16_bf16 v[60:63], a[98:99], a[18:19], v[60:63]// 000000009354: D3E1003C 1CF22562
	ds_write_b64 v22, v[152:153] offset:32256                  // 00000000935C: D89A7E00 00009816
	v_mfma_f32_16x16x16_bf16 v[60:63], a[100:101], a[20:21], v[60:63]// 000000009364: D3E1003C 1CF22964
	v_mfma_f32_16x16x16_bf16 v[60:63], a[102:103], a[22:23], v[60:63]// 00000000936C: D3E1003C 1CF22D66
	ds_write_b64 v22, v[154:155] offset:32768                  // 000000009374: D89A8000 00009A16
	v_mfma_f32_16x16x16_bf16 v[64:67], a[104:105], a[0:1], 0   // 00000000937C: D3E10040 1A020168
	buffer_atomic_add_f32 v161, v9, s[32:35], 0 idxen          // 000000009384: E1342000 8008A109
	v_mfma_f32_16x16x16_bf16 v[64:67], a[106:107], a[2:3], v[64:67]// 00000000938C: D3E10040 1D02056A
	ds_read_b128 v[124:127], v14 offset:13056                  // 000000009394: D9FE3300 7C00000E
	ds_write_b32 v13, v36                                      // 00000000939C: D81A0000 0000240D
	v_mfma_f32_16x16x16_bf16 v[64:67], a[108:109], a[4:5], v[64:67]// 0000000093A4: D3E10040 1D02096C
	v_mfma_f32_16x16x16_bf16 v[64:67], a[110:111], a[6:7], v[64:67]// 0000000093AC: D3E10040 1D020D6E
	v_mfma_f32_16x16x16_bf16 v[68:71], a[104:105], a[8:9], 0   // 0000000093B4: D3E10044 1A021168
	ds_read_b128 v[128:131], v14 offset:13568                  // 0000000093BC: D9FE3500 8000000E
	ds_write_b32 v13, v37 offset:1056                          // 0000000093C4: D81A0420 0000250D
	v_mfma_f32_16x16x16_bf16 v[68:71], a[106:107], a[10:11], v[68:71]// 0000000093CC: D3E10044 1D12156A
	buffer_atomic_add_f32 v162, v8, s[32:35], 0 idxen offset:128// 0000000093D4: E1342080 8008A208
	v_mfma_f32_16x16x16_bf16 v[68:71], a[108:109], a[12:13], v[68:71]// 0000000093DC: D3E10044 1D12196C
	v_mfma_f32_16x16x16_bf16 v[68:71], a[110:111], a[14:15], v[68:71]// 0000000093E4: D3E10044 1D121D6E
	ds_read_b128 v[132:135], v14 offset:15232                  // 0000000093EC: D9FE3B80 8400000E
	ds_write_b32 v13, v38 offset:2176                          // 0000000093F4: D81A0880 0000260D
	v_mfma_f32_16x16x16_bf16 v[72:75], a[104:105], a[16:17], 0 // 0000000093FC: D3E10048 1A022168
	v_mfma_f32_16x16x16_bf16 v[72:75], a[106:107], a[18:19], v[72:75]// 000000009404: D3E10048 1D22256A
	buffer_atomic_add_f32 v163, v9, s[32:35], 0 idxen offset:128// 00000000940C: E1342080 8008A309
	v_mfma_f32_16x16x16_bf16 v[72:75], a[108:109], a[20:21], v[72:75]// 000000009414: D3E10048 1D22296C
	ds_read_b128 v[136:139], v14 offset:15744                  // 00000000941C: D9FE3D80 8800000E
	ds_write_b32 v13, v39 offset:3232                          // 000000009424: D81A0CA0 0000270D
	v_mfma_f32_16x16x16_bf16 v[72:75], a[110:111], a[22:23], v[72:75]// 00000000942C: D3E10048 1D222D6E
	s_cmp_lt_i32 s97, 0xc0                                     // 000000009434: BF04FF61 000000C0
	s_cbranch_scc0 label_15A1                                  // 00000000943C: BF84006D
	s_cmp_le_i32 s97, 64                                       // 000000009440: BF05C061
	s_cbranch_scc1 label_1534                                  // 000000009444: BF850007
	s_cmp_le_i32 s97, 0x80                                     // 000000009448: BF05FF61 00000080
	s_cbranch_scc1 label_1558                                  // 000000009450: BF85001F
	s_cmp_lt_i32 s97, 0xc0                                     // 000000009454: BF04FF61 000000C0
	s_cbranch_scc1 label_157C                                  // 00000000945C: BF850040
	s_branch label_15A1                                        // 000000009460: BF820064

0000000000009464 <label_1534>:
	s_mov_b32 s60, 0                                           // 000000009464: BEBC0080
	v_and_b32_e32 v32, 15, v0                                  // 000000009468: 2640008F
	v_add_u32_e64 v32, v32, s60                                // 00000000946C: D1340020 00007920
	v_mul_i32_i24_e64 v33, s46, 16                             // 000000009474: D1060021 0001202E
	v_add_u32_e32 v32, v32, v33                                // 00000000947C: 68404320
	v_cmp_lt_u32_e64 s[60:61], v32, s97                        // 000000009480: D0C9003C 0000C320
	s_nop 1                                                    // 000000009488: BF800001
	v_cndmask_b32_e64 v52, v230, v52, s[60:61]                 // 00000000948C: D1000034 00F269E6
	v_cndmask_b32_e64 v64, v230, v64, s[60:61]                 // 000000009494: D1000040 00F281E6
	v_cndmask_b32_e64 v53, v230, v53, s[60:61]                 // 00000000949C: D1000035 00F26BE6
	v_cndmask_b32_e64 v65, v230, v65, s[60:61]                 // 0000000094A4: D1000041 00F283E6
	v_cndmask_b32_e64 v54, v230, v54, s[60:61]                 // 0000000094AC: D1000036 00F26DE6
	v_cndmask_b32_e64 v66, v230, v66, s[60:61]                 // 0000000094B4: D1000042 00F285E6
	v_cndmask_b32_e64 v55, v230, v55, s[60:61]                 // 0000000094BC: D1000037 00F26FE6
	v_cndmask_b32_e64 v67, v230, v67, s[60:61]                 // 0000000094C4: D1000043 00F287E6
	s_branch label_1573                                        // 0000000094CC: BF82001B

00000000000094d0 <label_1558>:
	s_mov_b32 s60, 64                                          // 0000000094D0: BEBC00C0
	v_and_b32_e32 v32, 15, v0                                  // 0000000094D4: 2640008F
	v_add_u32_e64 v32, v32, s60                                // 0000000094D8: D1340020 00007920
	v_mul_i32_i24_e64 v33, s46, 16                             // 0000000094E0: D1060021 0001202E
	v_add_u32_e32 v32, v32, v33                                // 0000000094E8: 68404320
	v_cmp_lt_u32_e64 s[60:61], v32, s97                        // 0000000094EC: D0C9003C 0000C320
	s_nop 1                                                    // 0000000094F4: BF800001
	v_cndmask_b32_e64 v56, v230, v56, s[60:61]                 // 0000000094F8: D1000038 00F271E6
	v_cndmask_b32_e64 v68, v230, v68, s[60:61]                 // 000000009500: D1000044 00F289E6
	v_cndmask_b32_e64 v57, v230, v57, s[60:61]                 // 000000009508: D1000039 00F273E6
	v_cndmask_b32_e64 v69, v230, v69, s[60:61]                 // 000000009510: D1000045 00F28BE6
	v_cndmask_b32_e64 v58, v230, v58, s[60:61]                 // 000000009518: D100003A 00F275E6
	v_cndmask_b32_e64 v70, v230, v70, s[60:61]                 // 000000009520: D1000046 00F28DE6
	v_cndmask_b32_e64 v59, v230, v59, s[60:61]                 // 000000009528: D100003B 00F277E6
	v_cndmask_b32_e64 v71, v230, v71, s[60:61]                 // 000000009530: D1000047 00F28FE6
	s_branch label_1598                                        // 000000009538: BF820025

000000000000953c <label_1573>:
	v_mov_b32_e32 v56, v230                                    // 00000000953C: 7E7003E6
	v_mov_b32_e32 v68, v230                                    // 000000009540: 7E8803E6
	v_mov_b32_e32 v57, v230                                    // 000000009544: 7E7203E6
	v_mov_b32_e32 v69, v230                                    // 000000009548: 7E8A03E6
	v_mov_b32_e32 v58, v230                                    // 00000000954C: 7E7403E6
	v_mov_b32_e32 v70, v230                                    // 000000009550: 7E8C03E6
	v_mov_b32_e32 v59, v230                                    // 000000009554: 7E7603E6
	v_mov_b32_e32 v71, v230                                    // 000000009558: 7E8E03E6
	s_branch label_1598                                        // 00000000955C: BF82001C

0000000000009560 <label_157C>:
	s_mov_b32 s60, 0x80                                        // 000000009560: BEBC00FF 00000080
	v_and_b32_e32 v32, 15, v0                                  // 000000009568: 2640008F
	v_add_u32_e64 v32, v32, s60                                // 00000000956C: D1340020 00007920
	v_mul_i32_i24_e64 v33, s46, 16                             // 000000009574: D1060021 0001202E
	v_add_u32_e32 v32, v32, v33                                // 00000000957C: 68404320
	v_cmp_lt_u32_e64 s[60:61], v32, s97                        // 000000009580: D0C9003C 0000C320
	s_nop 1                                                    // 000000009588: BF800001
	v_cndmask_b32_e64 v60, v230, v60, s[60:61]                 // 00000000958C: D100003C 00F279E6
	v_cndmask_b32_e64 v72, v230, v72, s[60:61]                 // 000000009594: D1000048 00F291E6
	v_cndmask_b32_e64 v61, v230, v61, s[60:61]                 // 00000000959C: D100003D 00F27BE6
	v_cndmask_b32_e64 v73, v230, v73, s[60:61]                 // 0000000095A4: D1000049 00F293E6
	v_cndmask_b32_e64 v62, v230, v62, s[60:61]                 // 0000000095AC: D100003E 00F27DE6
	v_cndmask_b32_e64 v74, v230, v74, s[60:61]                 // 0000000095B4: D100004A 00F295E6
	v_cndmask_b32_e64 v63, v230, v63, s[60:61]                 // 0000000095BC: D100003F 00F27FE6
	v_cndmask_b32_e64 v75, v230, v75, s[60:61]                 // 0000000095C4: D100004B 00F297E6
	s_branch label_15A1                                        // 0000000095CC: BF820009

00000000000095d0 <label_1598>:
	v_mov_b32_e32 v60, v230                                    // 0000000095D0: 7E7803E6
	v_mov_b32_e32 v72, v230                                    // 0000000095D4: 7E9003E6
	v_mov_b32_e32 v61, v230                                    // 0000000095D8: 7E7A03E6
	v_mov_b32_e32 v73, v230                                    // 0000000095DC: 7E9203E6
	v_mov_b32_e32 v62, v230                                    // 0000000095E0: 7E7C03E6
	v_mov_b32_e32 v74, v230                                    // 0000000095E4: 7E9403E6
	v_mov_b32_e32 v63, v230                                    // 0000000095E8: 7E7E03E6
	v_mov_b32_e32 v75, v230                                    // 0000000095EC: 7E9603E6
	s_branch label_15A1                                        // 0000000095F0: BF820000

00000000000095f4 <label_15A1>:
	s_waitcnt lgkmcnt(8)                                       // 0000000095F4: BF8CC87F
	s_barrier                                                  // 0000000095F8: BF8A0000
	v_mfma_f32_16x16x16_bf16 v[76:79], v[108:109], a[72:73], 0 // 0000000095FC: D3E1004C 1202916C
	v_fma_f32 v52, v52, s57, -v140                             // 000000009604: D1CB0034 86307334
	v_fma_f32 v53, v53, s57, -v141                             // 00000000960C: D1CB0035 86347335
	v_fma_f32 v54, v54, s57, -v142                             // 000000009614: D1CB0036 86387336
	v_fma_f32 v55, v55, s57, -v143                             // 00000000961C: D1CB0037 863C7337
	v_fma_f32 v56, v56, s57, -v140                             // 000000009624: D1CB0038 86307338
	v_fma_f32 v57, v57, s57, -v141                             // 00000000962C: D1CB0039 86347339
	v_mfma_f32_16x16x16_bf16 v[76:79], v[110:111], a[74:75], v[76:79]// 000000009634: D3E1004C 1532956E
	ds_read_b128 a[96:99], v14 offset:4352                     // 00000000963C: DBFE1100 6000000E
	ds_read_b128 a[100:103], v14 offset:4864                   // 000000009644: DBFE1300 6400000E
	v_mfma_f32_16x16x16_bf16 v[76:79], v[112:113], a[76:77], v[76:79]// 00000000964C: D3E1004C 15329970
	v_fma_f32 v58, v58, s57, -v142                             // 000000009654: D1CB003A 8638733A
	v_fma_f32 v59, v59, s57, -v143                             // 00000000965C: D1CB003B 863C733B
	v_fma_f32 v60, v60, s57, -v140                             // 000000009664: D1CB003C 8630733C
	v_fma_f32 v61, v61, s57, -v141                             // 00000000966C: D1CB003D 8634733D
	v_fma_f32 v62, v62, s57, -v142                             // 000000009674: D1CB003E 8638733E
	v_fma_f32 v63, v63, s57, -v143                             // 00000000967C: D1CB003F 863C733F
	v_mfma_f32_16x16x16_bf16 v[76:79], v[114:115], a[78:79], v[76:79]// 000000009684: D3E1004C 15329D72
	v_fma_f32 v64, v64, s57, -v144                             // 00000000968C: D1CB0040 86407340
	v_fma_f32 v65, v65, s57, -v145                             // 000000009694: D1CB0041 86447341
	v_fma_f32 v66, v66, s57, -v146                             // 00000000969C: D1CB0042 86487342
	v_fma_f32 v67, v67, s57, -v147                             // 0000000096A4: D1CB0043 864C7343
	v_fma_f32 v68, v68, s57, -v144                             // 0000000096AC: D1CB0044 86407344
	v_fma_f32 v69, v69, s57, -v145                             // 0000000096B4: D1CB0045 86447345
	v_mfma_f32_16x16x16_bf16 v[80:83], v[108:109], a[80:81], 0 // 0000000096BC: D3E10050 1202A16C
	v_fma_f32 v70, v70, s57, -v146                             // 0000000096C4: D1CB0046 86487346
	v_fma_f32 v71, v71, s57, -v147                             // 0000000096CC: D1CB0047 864C7347
	v_fma_f32 v72, v72, s57, -v144                             // 0000000096D4: D1CB0048 86407348
	v_fma_f32 v73, v73, s57, -v145                             // 0000000096DC: D1CB0049 86447349
	v_fma_f32 v74, v74, s57, -v146                             // 0000000096E4: D1CB004A 8648734A
	v_fma_f32 v75, v75, s57, -v147                             // 0000000096EC: D1CB004B 864C734B
	v_mfma_f32_16x16x16_bf16 v[80:83], v[110:111], a[82:83], v[80:83]// 0000000096F4: D3E10050 1542A56E
	ds_read_b128 a[104:107], v14 offset:6528                   // 0000000096FC: DBFE1980 6800000E
	ds_read_b128 a[108:111], v14 offset:7040                   // 000000009704: DBFE1B80 6C00000E
	v_mfma_f32_16x16x16_bf16 v[80:83], v[112:113], a[84:85], v[80:83]// 00000000970C: D3E10050 1542A970
	v_exp_f32_e32 v52, v52                                     // 000000009714: 7E684134
	v_exp_f32_e32 v53, v53                                     // 000000009718: 7E6A4135
	v_mfma_f32_16x16x16_bf16 v[80:83], v[114:115], a[86:87], v[80:83]// 00000000971C: D3E10050 1542AD72
	v_exp_f32_e32 v54, v54                                     // 000000009724: 7E6C4136
	v_exp_f32_e32 v55, v55                                     // 000000009728: 7E6E4137
	v_mfma_f32_16x16x16_bf16 v[84:87], v[108:109], a[88:89], 0 // 00000000972C: D3E10054 1202B16C
	v_exp_f32_e32 v56, v56                                     // 000000009734: 7E704138
	v_exp_f32_e32 v57, v57                                     // 000000009738: 7E724139
	v_mfma_f32_16x16x16_bf16 v[84:87], v[110:111], a[90:91], v[84:87]// 00000000973C: D3E10054 1552B56E
	ds_read_b64 v[156:157], v21 offset:31232                   // 000000009744: D8EC7A00 9C000015
	ds_read_b64 v[158:159], v21 offset:33280                   // 00000000974C: D8EC8200 9E000015
	v_mfma_f32_16x16x16_bf16 v[84:87], v[112:113], a[92:93], v[84:87]// 000000009754: D3E10054 1552B970
	v_exp_f32_e32 v58, v58                                     // 00000000975C: 7E74413A
	v_exp_f32_e32 v59, v59                                     // 000000009760: 7E76413B
	v_mfma_f32_16x16x16_bf16 v[84:87], v[114:115], a[94:95], v[84:87]// 000000009764: D3E10054 1552BD72
	ds_read_b64 v[160:161], v21 offset:35328                   // 00000000976C: D8EC8A00 A0000015
	ds_read_b64 v[162:163], v21 offset:37376                   // 000000009774: D8EC9200 A2000015
	v_mfma_f32_16x16x16_bf16 v[88:91], v[116:117], a[72:73], 0 // 00000000977C: D3E10058 12029174
	v_exp_f32_e32 v60, v60                                     // 000000009784: 7E78413C
	v_exp_f32_e32 v61, v61                                     // 000000009788: 7E7A413D
	v_mfma_f32_16x16x16_bf16 v[88:91], v[118:119], a[74:75], v[88:91]// 00000000978C: D3E10058 15629576
	v_exp_f32_e32 v62, v62                                     // 000000009794: 7E7C413E
	v_exp_f32_e32 v63, v63                                     // 000000009798: 7E7E413F
	v_mfma_f32_16x16x16_bf16 v[88:91], v[120:121], a[76:77], v[88:91]// 00000000979C: D3E10058 15629978
	v_exp_f32_e32 v64, v64                                     // 0000000097A4: 7E804140
	v_exp_f32_e32 v65, v65                                     // 0000000097A8: 7E824141
	v_mfma_f32_16x16x16_bf16 v[88:91], v[122:123], a[78:79], v[88:91]// 0000000097AC: D3E10058 15629D7A
	v_exp_f32_e32 v66, v66                                     // 0000000097B4: 7E844142
	v_exp_f32_e32 v67, v67                                     // 0000000097B8: 7E864143
	v_mfma_f32_16x16x16_bf16 v[92:95], v[116:117], a[80:81], 0 // 0000000097BC: D3E1005C 1202A174
	v_exp_f32_e32 v68, v68                                     // 0000000097C4: 7E884144
	v_exp_f32_e32 v69, v69                                     // 0000000097C8: 7E8A4145
	v_mfma_f32_16x16x16_bf16 v[92:95], v[118:119], a[82:83], v[92:95]// 0000000097CC: D3E1005C 1572A576
	v_exp_f32_e32 v70, v70                                     // 0000000097D4: 7E8C4146
	v_exp_f32_e32 v71, v71                                     // 0000000097D8: 7E8E4147
	v_mfma_f32_16x16x16_bf16 v[92:95], v[120:121], a[84:85], v[92:95]// 0000000097DC: D3E1005C 1572A978
	v_exp_f32_e32 v72, v72                                     // 0000000097E4: 7E904148
	v_exp_f32_e32 v73, v73                                     // 0000000097E8: 7E924149
	v_mfma_f32_16x16x16_bf16 v[92:95], v[122:123], a[86:87], v[92:95]// 0000000097EC: D3E1005C 1572AD7A
	v_exp_f32_e32 v74, v74                                     // 0000000097F4: 7E94414A
	v_exp_f32_e32 v75, v75                                     // 0000000097F8: 7E96414B
	v_mfma_f32_16x16x16_bf16 v[96:99], v[116:117], a[88:89], 0 // 0000000097FC: D3E10060 1202B174
	v_cmp_u_f32_e64 s[74:75], v52, v52                         // 000000009804: D048004A 00026934
	v_bfe_u32 v226, v52, 16, 1                                 // 00000000980C: D1C800E2 02052134
	v_add3_u32 v226, v52, v226, v229                           // 000000009814: D1FF00E2 0797C534
	v_cndmask_b32_e64 v32, v226, v228, s[74:75]                // 00000000981C: D1000020 012BC9E2
	v_lshrrev_b32_e32 v32, 16, v32                             // 000000009824: 20404090
	v_cmp_u_f32_e64 s[74:75], v53, v53                         // 000000009828: D048004A 00026B35
	v_bfe_u32 v226, v53, 16, 1                                 // 000000009830: D1C800E2 02052135
	v_add3_u32 v226, v53, v226, v229                           // 000000009838: D1FF00E2 0797C535
	v_cndmask_b32_e64 v33, v226, v228, s[74:75]                // 000000009840: D1000021 012BC9E2
	v_and_or_b32 v164, v33, v227, v32                          // 000000009848: D20100A4 0483C721
	v_cmp_u_f32_e64 s[74:75], v54, v54                         // 000000009850: D048004A 00026D36
	v_bfe_u32 v226, v54, 16, 1                                 // 000000009858: D1C800E2 02052136
	v_add3_u32 v226, v54, v226, v229                           // 000000009860: D1FF00E2 0797C536
	v_cndmask_b32_e64 v32, v226, v228, s[74:75]                // 000000009868: D1000020 012BC9E2
	v_lshrrev_b32_e32 v32, 16, v32                             // 000000009870: 20404090
	v_cmp_u_f32_e64 s[74:75], v55, v55                         // 000000009874: D048004A 00026F37
	v_bfe_u32 v226, v55, 16, 1                                 // 00000000987C: D1C800E2 02052137
	v_add3_u32 v226, v55, v226, v229                           // 000000009884: D1FF00E2 0797C537
	v_cndmask_b32_e64 v33, v226, v228, s[74:75]                // 00000000988C: D1000021 012BC9E2
	v_and_or_b32 v165, v33, v227, v32                          // 000000009894: D20100A5 0483C721
	v_cmp_u_f32_e64 s[74:75], v56, v56                         // 00000000989C: D048004A 00027138
	v_bfe_u32 v226, v56, 16, 1                                 // 0000000098A4: D1C800E2 02052138
	v_add3_u32 v226, v56, v226, v229                           // 0000000098AC: D1FF00E2 0797C538
	v_cndmask_b32_e64 v32, v226, v228, s[74:75]                // 0000000098B4: D1000020 012BC9E2
	v_lshrrev_b32_e32 v32, 16, v32                             // 0000000098BC: 20404090
	v_cmp_u_f32_e64 s[74:75], v57, v57                         // 0000000098C0: D048004A 00027339
	v_bfe_u32 v226, v57, 16, 1                                 // 0000000098C8: D1C800E2 02052139
	v_add3_u32 v226, v57, v226, v229                           // 0000000098D0: D1FF00E2 0797C539
	v_cndmask_b32_e64 v33, v226, v228, s[74:75]                // 0000000098D8: D1000021 012BC9E2
	v_and_or_b32 v166, v33, v227, v32                          // 0000000098E0: D20100A6 0483C721
	v_cmp_u_f32_e64 s[74:75], v58, v58                         // 0000000098E8: D048004A 0002753A
	v_bfe_u32 v226, v58, 16, 1                                 // 0000000098F0: D1C800E2 0205213A
	v_add3_u32 v226, v58, v226, v229                           // 0000000098F8: D1FF00E2 0797C53A
	v_cndmask_b32_e64 v32, v226, v228, s[74:75]                // 000000009900: D1000020 012BC9E2
	v_lshrrev_b32_e32 v32, 16, v32                             // 000000009908: 20404090
	v_cmp_u_f32_e64 s[74:75], v59, v59                         // 00000000990C: D048004A 0002773B
	v_bfe_u32 v226, v59, 16, 1                                 // 000000009914: D1C800E2 0205213B
	v_add3_u32 v226, v59, v226, v229                           // 00000000991C: D1FF00E2 0797C53B
	v_cndmask_b32_e64 v33, v226, v228, s[74:75]                // 000000009924: D1000021 012BC9E2
	v_and_or_b32 v167, v33, v227, v32                          // 00000000992C: D20100A7 0483C721
	v_cmp_u_f32_e64 s[74:75], v60, v60                         // 000000009934: D048004A 0002793C
	v_bfe_u32 v226, v60, 16, 1                                 // 00000000993C: D1C800E2 0205213C
	v_add3_u32 v226, v60, v226, v229                           // 000000009944: D1FF00E2 0797C53C
	v_cndmask_b32_e64 v32, v226, v228, s[74:75]                // 00000000994C: D1000020 012BC9E2
	v_lshrrev_b32_e32 v32, 16, v32                             // 000000009954: 20404090
	v_cmp_u_f32_e64 s[74:75], v61, v61                         // 000000009958: D048004A 00027B3D
	v_bfe_u32 v226, v61, 16, 1                                 // 000000009960: D1C800E2 0205213D
	v_add3_u32 v226, v61, v226, v229                           // 000000009968: D1FF00E2 0797C53D
	v_cndmask_b32_e64 v33, v226, v228, s[74:75]                // 000000009970: D1000021 012BC9E2
	v_and_or_b32 v168, v33, v227, v32                          // 000000009978: D20100A8 0483C721
	v_cmp_u_f32_e64 s[74:75], v62, v62                         // 000000009980: D048004A 00027D3E
	v_bfe_u32 v226, v62, 16, 1                                 // 000000009988: D1C800E2 0205213E
	v_add3_u32 v226, v62, v226, v229                           // 000000009990: D1FF00E2 0797C53E
	v_cndmask_b32_e64 v32, v226, v228, s[74:75]                // 000000009998: D1000020 012BC9E2
	v_lshrrev_b32_e32 v32, 16, v32                             // 0000000099A0: 20404090
	v_cmp_u_f32_e64 s[74:75], v63, v63                         // 0000000099A4: D048004A 00027F3F
	v_bfe_u32 v226, v63, 16, 1                                 // 0000000099AC: D1C800E2 0205213F
	v_add3_u32 v226, v63, v226, v229                           // 0000000099B4: D1FF00E2 0797C53F
	v_cndmask_b32_e64 v33, v226, v228, s[74:75]                // 0000000099BC: D1000021 012BC9E2
	v_and_or_b32 v169, v33, v227, v32                          // 0000000099C4: D20100A9 0483C721
	v_mfma_f32_16x16x16_bf16 v[96:99], v[118:119], a[90:91], v[96:99]// 0000000099CC: D3E10060 1582B576
	v_cmp_u_f32_e64 s[74:75], v64, v64                         // 0000000099D4: D048004A 00028140
	v_bfe_u32 v226, v64, 16, 1                                 // 0000000099DC: D1C800E2 02052140
	v_add3_u32 v226, v64, v226, v229                           // 0000000099E4: D1FF00E2 0797C540
	v_cndmask_b32_e64 v32, v226, v228, s[74:75]                // 0000000099EC: D1000020 012BC9E2
	v_lshrrev_b32_e32 v32, 16, v32                             // 0000000099F4: 20404090
	v_cmp_u_f32_e64 s[74:75], v65, v65                         // 0000000099F8: D048004A 00028341
	v_bfe_u32 v226, v65, 16, 1                                 // 000000009A00: D1C800E2 02052141
	v_add3_u32 v226, v65, v226, v229                           // 000000009A08: D1FF00E2 0797C541
	v_cndmask_b32_e64 v33, v226, v228, s[74:75]                // 000000009A10: D1000021 012BC9E2
	v_and_or_b32 v170, v33, v227, v32                          // 000000009A18: D20100AA 0483C721
	v_cmp_u_f32_e64 s[74:75], v66, v66                         // 000000009A20: D048004A 00028542
	v_bfe_u32 v226, v66, 16, 1                                 // 000000009A28: D1C800E2 02052142
	v_add3_u32 v226, v66, v226, v229                           // 000000009A30: D1FF00E2 0797C542
	v_cndmask_b32_e64 v32, v226, v228, s[74:75]                // 000000009A38: D1000020 012BC9E2
	v_lshrrev_b32_e32 v32, 16, v32                             // 000000009A40: 20404090
	v_cmp_u_f32_e64 s[74:75], v67, v67                         // 000000009A44: D048004A 00028743
	v_bfe_u32 v226, v67, 16, 1                                 // 000000009A4C: D1C800E2 02052143
	v_add3_u32 v226, v67, v226, v229                           // 000000009A54: D1FF00E2 0797C543
	v_cndmask_b32_e64 v33, v226, v228, s[74:75]                // 000000009A5C: D1000021 012BC9E2
	v_and_or_b32 v171, v33, v227, v32                          // 000000009A64: D20100AB 0483C721
	v_cmp_u_f32_e64 s[74:75], v68, v68                         // 000000009A6C: D048004A 00028944
	v_bfe_u32 v226, v68, 16, 1                                 // 000000009A74: D1C800E2 02052144
	v_add3_u32 v226, v68, v226, v229                           // 000000009A7C: D1FF00E2 0797C544
	v_cndmask_b32_e64 v32, v226, v228, s[74:75]                // 000000009A84: D1000020 012BC9E2
	v_lshrrev_b32_e32 v32, 16, v32                             // 000000009A8C: 20404090
	v_cmp_u_f32_e64 s[74:75], v69, v69                         // 000000009A90: D048004A 00028B45
	v_bfe_u32 v226, v69, 16, 1                                 // 000000009A98: D1C800E2 02052145
	v_add3_u32 v226, v69, v226, v229                           // 000000009AA0: D1FF00E2 0797C545
	v_cndmask_b32_e64 v33, v226, v228, s[74:75]                // 000000009AA8: D1000021 012BC9E2
	v_and_or_b32 v172, v33, v227, v32                          // 000000009AB0: D20100AC 0483C721
	v_cmp_u_f32_e64 s[74:75], v70, v70                         // 000000009AB8: D048004A 00028D46
	v_bfe_u32 v226, v70, 16, 1                                 // 000000009AC0: D1C800E2 02052146
	v_add3_u32 v226, v70, v226, v229                           // 000000009AC8: D1FF00E2 0797C546
	v_cndmask_b32_e64 v32, v226, v228, s[74:75]                // 000000009AD0: D1000020 012BC9E2
	v_lshrrev_b32_e32 v32, 16, v32                             // 000000009AD8: 20404090
	v_cmp_u_f32_e64 s[74:75], v71, v71                         // 000000009ADC: D048004A 00028F47
	v_bfe_u32 v226, v71, 16, 1                                 // 000000009AE4: D1C800E2 02052147
	v_add3_u32 v226, v71, v226, v229                           // 000000009AEC: D1FF00E2 0797C547
	v_cndmask_b32_e64 v33, v226, v228, s[74:75]                // 000000009AF4: D1000021 012BC9E2
	v_and_or_b32 v173, v33, v227, v32                          // 000000009AFC: D20100AD 0483C721
	v_cmp_u_f32_e64 s[74:75], v72, v72                         // 000000009B04: D048004A 00029148
	v_bfe_u32 v226, v72, 16, 1                                 // 000000009B0C: D1C800E2 02052148
	v_add3_u32 v226, v72, v226, v229                           // 000000009B14: D1FF00E2 0797C548
	v_cndmask_b32_e64 v32, v226, v228, s[74:75]                // 000000009B1C: D1000020 012BC9E2
	v_lshrrev_b32_e32 v32, 16, v32                             // 000000009B24: 20404090
	v_cmp_u_f32_e64 s[74:75], v73, v73                         // 000000009B28: D048004A 00029349
	v_bfe_u32 v226, v73, 16, 1                                 // 000000009B30: D1C800E2 02052149
	v_add3_u32 v226, v73, v226, v229                           // 000000009B38: D1FF00E2 0797C549
	v_cndmask_b32_e64 v33, v226, v228, s[74:75]                // 000000009B40: D1000021 012BC9E2
	v_and_or_b32 v174, v33, v227, v32                          // 000000009B48: D20100AE 0483C721
	v_cmp_u_f32_e64 s[74:75], v74, v74                         // 000000009B50: D048004A 0002954A
	v_bfe_u32 v226, v74, 16, 1                                 // 000000009B58: D1C800E2 0205214A
	v_add3_u32 v226, v74, v226, v229                           // 000000009B60: D1FF00E2 0797C54A
	v_cndmask_b32_e64 v32, v226, v228, s[74:75]                // 000000009B68: D1000020 012BC9E2
	v_lshrrev_b32_e32 v32, 16, v32                             // 000000009B70: 20404090
	v_cmp_u_f32_e64 s[74:75], v75, v75                         // 000000009B74: D048004A 0002974B
	v_bfe_u32 v226, v75, 16, 1                                 // 000000009B7C: D1C800E2 0205214B
	v_add3_u32 v226, v75, v226, v229                           // 000000009B84: D1FF00E2 0797C54B
	v_cndmask_b32_e64 v33, v226, v228, s[74:75]                // 000000009B8C: D1000021 012BC9E2
	v_and_or_b32 v175, v33, v227, v32                          // 000000009B94: D20100AF 0483C721
	v_mfma_f32_16x16x16_bf16 v[96:99], v[120:121], a[92:93], v[96:99]// 000000009B9C: D3E10060 1582B978
	v_add_u32_e32 v6, s66, v6                                  // 000000009BA4: 680C0C42
	v_add_u32_e32 v7, s66, v7                                  // 000000009BA8: 680E0E42
	v_add_u32_e32 v8, s66, v8                                  // 000000009BAC: 68101042
	v_add_u32_e32 v9, s66, v9                                  // 000000009BB0: 68121242
	v_mfma_f32_16x16x16_bf16 v[96:99], v[122:123], a[94:95], v[96:99]// 000000009BB4: D3E10060 1582BD7A
	s_waitcnt lgkmcnt(0)                                       // 000000009BBC: BF8CC07F
	s_barrier                                                  // 000000009BC0: BF8A0000
	v_mfma_f32_16x16x16_bf16 v[178:181], v[124:125], v[164:165], v[178:181]// 000000009BC4: D3E100B2 06CB497C
	v_subrev_f32_dpp v76, v176, v76 quad_perm:[0,0,0,0] row_mask:0xf bank_mask:0xf// 000000009BCC: 069898FA FF0000B0
	v_subrev_f32_dpp v77, v176, v77 quad_perm:[1,1,1,1] row_mask:0xf bank_mask:0xf// 000000009BD4: 069A9AFA FF0055B0
	v_subrev_f32_dpp v78, v176, v78 quad_perm:[2,2,2,2] row_mask:0xf bank_mask:0xf// 000000009BDC: 069C9CFA FF00AAB0
	v_subrev_f32_dpp v79, v176, v79 quad_perm:[3,3,3,3] row_mask:0xf bank_mask:0xf// 000000009BE4: 069E9EFA FF00FFB0
	v_subrev_f32_dpp v80, v176, v80 quad_perm:[0,0,0,0] row_mask:0xf bank_mask:0xf// 000000009BEC: 06A0A0FA FF0000B0
	v_subrev_f32_dpp v81, v176, v81 quad_perm:[1,1,1,1] row_mask:0xf bank_mask:0xf// 000000009BF4: 06A2A2FA FF0055B0
	v_mfma_f32_16x16x16_bf16 v[182:185], v[126:127], v[164:165], v[182:185]// 000000009BFC: D3E100B6 06DB497E
	v_subrev_f32_dpp v82, v176, v82 quad_perm:[2,2,2,2] row_mask:0xf bank_mask:0xf// 000000009C04: 06A4A4FA FF00AAB0
	v_subrev_f32_dpp v83, v176, v83 quad_perm:[3,3,3,3] row_mask:0xf bank_mask:0xf// 000000009C0C: 06A6A6FA FF00FFB0
	v_subrev_f32_dpp v84, v176, v84 quad_perm:[0,0,0,0] row_mask:0xf bank_mask:0xf// 000000009C14: 06A8A8FA FF0000B0
	v_subrev_f32_dpp v85, v176, v85 quad_perm:[1,1,1,1] row_mask:0xf bank_mask:0xf// 000000009C1C: 06AAAAFA FF0055B0
	v_subrev_f32_dpp v86, v176, v86 quad_perm:[2,2,2,2] row_mask:0xf bank_mask:0xf// 000000009C24: 06ACACFA FF00AAB0
	v_subrev_f32_dpp v87, v176, v87 quad_perm:[3,3,3,3] row_mask:0xf bank_mask:0xf// 000000009C2C: 06AEAEFA FF00FFB0
	v_mfma_f32_16x16x16_bf16 v[186:189], v[128:129], v[164:165], v[186:189]// 000000009C34: D3E100BA 06EB4980
	v_mul_f32_e32 v76, v52, v76                                // 000000009C3C: 0A989934
	v_mul_f32_e32 v77, v53, v77                                // 000000009C40: 0A9A9B35
	v_mul_f32_e32 v78, v54, v78                                // 000000009C44: 0A9C9D36
	v_mul_f32_e32 v79, v55, v79                                // 000000009C48: 0A9E9F37
	v_mul_f32_e32 v80, v56, v80                                // 000000009C4C: 0AA0A138
	v_mul_f32_e32 v81, v57, v81                                // 000000009C50: 0AA2A339
	v_mfma_f32_16x16x16_bf16 v[190:193], v[130:131], v[164:165], v[190:193]// 000000009C54: D3E100BE 06FB4982
	v_mul_f32_e32 v82, v58, v82                                // 000000009C5C: 0AA4A53A
	v_mul_f32_e32 v83, v59, v83                                // 000000009C60: 0AA6A73B
	v_mul_f32_e32 v84, v60, v84                                // 000000009C64: 0AA8A93C
	v_mul_f32_e32 v85, v61, v85                                // 000000009C68: 0AAAAB3D
	v_mul_f32_e32 v86, v62, v86                                // 000000009C6C: 0AACAD3E
	v_mul_f32_e32 v87, v63, v87                                // 000000009C70: 0AAEAF3F
	v_mfma_f32_16x16x16_bf16 v[194:197], v[124:125], v[166:167], v[194:197]// 000000009C74: D3E100C2 070B4D7C
	v_cmp_u_f32_e64 s[74:75], v76, v76                         // 000000009C7C: D048004A 0002994C
	v_bfe_u32 v226, v76, 16, 1                                 // 000000009C84: D1C800E2 0205214C
	v_add3_u32 v226, v76, v226, v229                           // 000000009C8C: D1FF00E2 0797C54C
	v_cndmask_b32_e64 v32, v226, v228, s[74:75]                // 000000009C94: D1000020 012BC9E2
	v_lshrrev_b32_e32 v32, 16, v32                             // 000000009C9C: 20404090
	v_cmp_u_f32_e64 s[74:75], v77, v77                         // 000000009CA0: D048004A 00029B4D
	v_bfe_u32 v226, v77, 16, 1                                 // 000000009CA8: D1C800E2 0205214D
	v_add3_u32 v226, v77, v226, v229                           // 000000009CB0: D1FF00E2 0797C54D
	v_cndmask_b32_e64 v33, v226, v228, s[74:75]                // 000000009CB8: D1000021 012BC9E2
	v_and_or_b32 v76, v33, v227, v32                           // 000000009CC0: D201004C 0483C721
	v_cmp_u_f32_e64 s[74:75], v78, v78                         // 000000009CC8: D048004A 00029D4E
	v_bfe_u32 v226, v78, 16, 1                                 // 000000009CD0: D1C800E2 0205214E
	v_add3_u32 v226, v78, v226, v229                           // 000000009CD8: D1FF00E2 0797C54E
	v_cndmask_b32_e64 v32, v226, v228, s[74:75]                // 000000009CE0: D1000020 012BC9E2
	v_lshrrev_b32_e32 v32, 16, v32                             // 000000009CE8: 20404090
	v_cmp_u_f32_e64 s[74:75], v79, v79                         // 000000009CEC: D048004A 00029F4F
	v_bfe_u32 v226, v79, 16, 1                                 // 000000009CF4: D1C800E2 0205214F
	v_add3_u32 v226, v79, v226, v229                           // 000000009CFC: D1FF00E2 0797C54F
	v_cndmask_b32_e64 v33, v226, v228, s[74:75]                // 000000009D04: D1000021 012BC9E2
	v_and_or_b32 v77, v33, v227, v32                           // 000000009D0C: D201004D 0483C721
	v_cmp_u_f32_e64 s[74:75], v80, v80                         // 000000009D14: D048004A 0002A150
	v_bfe_u32 v226, v80, 16, 1                                 // 000000009D1C: D1C800E2 02052150
	v_add3_u32 v226, v80, v226, v229                           // 000000009D24: D1FF00E2 0797C550
	v_cndmask_b32_e64 v32, v226, v228, s[74:75]                // 000000009D2C: D1000020 012BC9E2
	v_lshrrev_b32_e32 v32, 16, v32                             // 000000009D34: 20404090
	v_cmp_u_f32_e64 s[74:75], v81, v81                         // 000000009D38: D048004A 0002A351
	v_bfe_u32 v226, v81, 16, 1                                 // 000000009D40: D1C800E2 02052151
	v_add3_u32 v226, v81, v226, v229                           // 000000009D48: D1FF00E2 0797C551
	v_cndmask_b32_e64 v33, v226, v228, s[74:75]                // 000000009D50: D1000021 012BC9E2
	v_and_or_b32 v78, v33, v227, v32                           // 000000009D58: D201004E 0483C721
	v_cmp_u_f32_e64 s[74:75], v82, v82                         // 000000009D60: D048004A 0002A552
	v_bfe_u32 v226, v82, 16, 1                                 // 000000009D68: D1C800E2 02052152
	v_add3_u32 v226, v82, v226, v229                           // 000000009D70: D1FF00E2 0797C552
	v_cndmask_b32_e64 v32, v226, v228, s[74:75]                // 000000009D78: D1000020 012BC9E2
	v_lshrrev_b32_e32 v32, 16, v32                             // 000000009D80: 20404090
	v_cmp_u_f32_e64 s[74:75], v83, v83                         // 000000009D84: D048004A 0002A753
	v_bfe_u32 v226, v83, 16, 1                                 // 000000009D8C: D1C800E2 02052153
	v_add3_u32 v226, v83, v226, v229                           // 000000009D94: D1FF00E2 0797C553
	v_cndmask_b32_e64 v33, v226, v228, s[74:75]                // 000000009D9C: D1000021 012BC9E2
	v_and_or_b32 v79, v33, v227, v32                           // 000000009DA4: D201004F 0483C721
	v_cmp_u_f32_e64 s[74:75], v84, v84                         // 000000009DAC: D048004A 0002A954
	v_bfe_u32 v226, v84, 16, 1                                 // 000000009DB4: D1C800E2 02052154
	v_add3_u32 v226, v84, v226, v229                           // 000000009DBC: D1FF00E2 0797C554
	v_cndmask_b32_e64 v32, v226, v228, s[74:75]                // 000000009DC4: D1000020 012BC9E2
	v_lshrrev_b32_e32 v32, 16, v32                             // 000000009DCC: 20404090
	v_cmp_u_f32_e64 s[74:75], v85, v85                         // 000000009DD0: D048004A 0002AB55
	v_bfe_u32 v226, v85, 16, 1                                 // 000000009DD8: D1C800E2 02052155
	v_add3_u32 v226, v85, v226, v229                           // 000000009DE0: D1FF00E2 0797C555
	v_cndmask_b32_e64 v33, v226, v228, s[74:75]                // 000000009DE8: D1000021 012BC9E2
	v_and_or_b32 v80, v33, v227, v32                           // 000000009DF0: D2010050 0483C721
	v_cmp_u_f32_e64 s[74:75], v86, v86                         // 000000009DF8: D048004A 0002AD56
	v_bfe_u32 v226, v86, 16, 1                                 // 000000009E00: D1C800E2 02052156
	v_add3_u32 v226, v86, v226, v229                           // 000000009E08: D1FF00E2 0797C556
	v_cndmask_b32_e64 v32, v226, v228, s[74:75]                // 000000009E10: D1000020 012BC9E2
	v_lshrrev_b32_e32 v32, 16, v32                             // 000000009E18: 20404090
	v_cmp_u_f32_e64 s[74:75], v87, v87                         // 000000009E1C: D048004A 0002AF57
	v_bfe_u32 v226, v87, 16, 1                                 // 000000009E24: D1C800E2 02052157
	v_add3_u32 v226, v87, v226, v229                           // 000000009E2C: D1FF00E2 0797C557
	v_cndmask_b32_e64 v33, v226, v228, s[74:75]                // 000000009E34: D1000021 012BC9E2
	v_and_or_b32 v81, v33, v227, v32                           // 000000009E3C: D2010051 0483C721
	v_mfma_f32_16x16x16_bf16 v[198:201], v[126:127], v[166:167], v[198:201]// 000000009E44: D3E100C6 071B4D7E
	v_mov_b32_dpp v18, v76 quad_perm:[1,0,3,2] row_mask:0xf bank_mask:0xf// 000000009E4C: 7E2402FA FF00B14C
	v_perm_b32 v52, v18, v76, v17                              // 000000009E54: D1ED0034 04469912
	v_mov_b32_dpp v18, v77 quad_perm:[1,0,3,2] row_mask:0xf bank_mask:0xf// 000000009E5C: 7E2402FA FF00B14D
	v_perm_b32 v53, v18, v77, v17                              // 000000009E64: D1ED0035 04469B12
	v_mov_b32_dpp v18, v78 quad_perm:[1,0,3,2] row_mask:0xf bank_mask:0xf// 000000009E6C: 7E2402FA FF00B14E
	v_perm_b32 v54, v18, v78, v17                              // 000000009E74: D1ED0036 04469D12
	v_mfma_f32_16x16x16_bf16 v[202:205], v[128:129], v[166:167], v[202:205]// 000000009E7C: D3E100CA 072B4D80
	ds_write_b32 v20, v52 offset:17408                         // 000000009E84: D81A4400 00003414
	ds_write_b32 v20, v53 offset:17952                         // 000000009E8C: D81A4620 00003514
	v_mfma_f32_16x16x16_bf16 v[206:209], v[130:131], v[166:167], v[206:209]// 000000009E94: D3E100CE 073B4D82
	v_mov_b32_dpp v18, v79 quad_perm:[1,0,3,2] row_mask:0xf bank_mask:0xf// 000000009E9C: 7E2402FA FF00B14F
	v_perm_b32 v55, v18, v79, v17                              // 000000009EA4: D1ED0037 04469F12
	v_mov_b32_dpp v18, v80 quad_perm:[1,0,3,2] row_mask:0xf bank_mask:0xf// 000000009EAC: 7E2402FA FF00B150
	v_perm_b32 v56, v18, v80, v17                              // 000000009EB4: D1ED0038 0446A112
	v_mov_b32_dpp v18, v81 quad_perm:[1,0,3,2] row_mask:0xf bank_mask:0xf// 000000009EBC: 7E2402FA FF00B151
	v_perm_b32 v57, v18, v81, v17                              // 000000009EC4: D1ED0039 0446A312
	v_mfma_f32_16x16x16_bf16 v[210:213], v[124:125], v[168:169], v[210:213]// 000000009ECC: D3E100D2 074B517C
	ds_write_b32 v20, v54 offset:19712                         // 000000009ED4: D81A4D00 00003614
	ds_write_b32 v20, v55 offset:20256                         // 000000009EDC: D81A4F20 00003714
	v_mfma_f32_16x16x16_bf16 v[214:217], v[126:127], v[168:169], v[214:217]// 000000009EE4: D3E100D6 075B517E
	v_subrev_f32_dpp v88, v177, v88 quad_perm:[0,0,0,0] row_mask:0xf bank_mask:0xf// 000000009EEC: 06B0B0FA FF0000B1
	v_subrev_f32_dpp v89, v177, v89 quad_perm:[1,1,1,1] row_mask:0xf bank_mask:0xf// 000000009EF4: 06B2B2FA FF0055B1
	v_subrev_f32_dpp v90, v177, v90 quad_perm:[2,2,2,2] row_mask:0xf bank_mask:0xf// 000000009EFC: 06B4B4FA FF00AAB1
	v_subrev_f32_dpp v91, v177, v91 quad_perm:[3,3,3,3] row_mask:0xf bank_mask:0xf// 000000009F04: 06B6B6FA FF00FFB1
	v_subrev_f32_dpp v92, v177, v92 quad_perm:[0,0,0,0] row_mask:0xf bank_mask:0xf// 000000009F0C: 06B8B8FA FF0000B1
	v_subrev_f32_dpp v93, v177, v93 quad_perm:[1,1,1,1] row_mask:0xf bank_mask:0xf// 000000009F14: 06BABAFA FF0055B1
	v_mfma_f32_16x16x16_bf16 v[218:221], v[128:129], v[168:169], v[218:221]// 000000009F1C: D3E100DA 076B5180
	ds_write_b32 v20, v56 offset:22016                         // 000000009F24: D81A5600 00003814
	ds_write_b32 v20, v57 offset:22560                         // 000000009F2C: D81A5820 00003914
	v_mfma_f32_16x16x16_bf16 v[222:225], v[130:131], v[168:169], v[222:225]// 000000009F34: D3E100DE 077B5182
	v_subrev_f32_dpp v94, v177, v94 quad_perm:[2,2,2,2] row_mask:0xf bank_mask:0xf// 000000009F3C: 06BCBCFA FF00AAB1
	v_subrev_f32_dpp v95, v177, v95 quad_perm:[3,3,3,3] row_mask:0xf bank_mask:0xf// 000000009F44: 06BEBEFA FF00FFB1
	v_subrev_f32_dpp v96, v177, v96 quad_perm:[0,0,0,0] row_mask:0xf bank_mask:0xf// 000000009F4C: 06C0C0FA FF0000B1
	v_subrev_f32_dpp v97, v177, v97 quad_perm:[1,1,1,1] row_mask:0xf bank_mask:0xf// 000000009F54: 06C2C2FA FF0055B1
	v_subrev_f32_dpp v98, v177, v98 quad_perm:[2,2,2,2] row_mask:0xf bank_mask:0xf// 000000009F5C: 06C4C4FA FF00AAB1
	v_subrev_f32_dpp v99, v177, v99 quad_perm:[3,3,3,3] row_mask:0xf bank_mask:0xf// 000000009F64: 06C6C6FA FF00FFB1
	v_mfma_f32_16x16x16_bf16 v[178:181], v[132:133], v[170:171], v[178:181]// 000000009F6C: D3E100B2 06CB5584
	v_mul_f32_e32 v88, v64, v88                                // 000000009F74: 0AB0B140
	v_mul_f32_e32 v89, v65, v89                                // 000000009F78: 0AB2B341
	v_mul_f32_e32 v90, v66, v90                                // 000000009F7C: 0AB4B542
	v_mul_f32_e32 v91, v67, v91                                // 000000009F80: 0AB6B743
	v_mul_f32_e32 v92, v68, v92                                // 000000009F84: 0AB8B944
	v_mul_f32_e32 v93, v69, v93                                // 000000009F88: 0ABABB45
	v_mfma_f32_16x16x16_bf16 v[182:185], v[134:135], v[170:171], v[182:185]// 000000009F8C: D3E100B6 06DB5586
	v_mul_f32_e32 v94, v70, v94                                // 000000009F94: 0ABCBD46
	v_mul_f32_e32 v95, v71, v95                                // 000000009F98: 0ABEBF47
	v_mul_f32_e32 v96, v72, v96                                // 000000009F9C: 0AC0C148
	v_mul_f32_e32 v97, v73, v97                                // 000000009FA0: 0AC2C349
	v_mul_f32_e32 v98, v74, v98                                // 000000009FA4: 0AC4C54A
	v_mul_f32_e32 v99, v75, v99                                // 000000009FA8: 0AC6C74B
	v_mfma_f32_16x16x16_bf16 v[186:189], v[136:137], v[170:171], v[186:189]// 000000009FAC: D3E100BA 06EB5588
	v_cmp_u_f32_e64 s[74:75], v88, v88                         // 000000009FB4: D048004A 0002B158
	v_bfe_u32 v226, v88, 16, 1                                 // 000000009FBC: D1C800E2 02052158
	v_add3_u32 v226, v88, v226, v229                           // 000000009FC4: D1FF00E2 0797C558
	v_cndmask_b32_e64 v32, v226, v228, s[74:75]                // 000000009FCC: D1000020 012BC9E2
	v_lshrrev_b32_e32 v32, 16, v32                             // 000000009FD4: 20404090
	v_cmp_u_f32_e64 s[74:75], v89, v89                         // 000000009FD8: D048004A 0002B359
	v_bfe_u32 v226, v89, 16, 1                                 // 000000009FE0: D1C800E2 02052159
	v_add3_u32 v226, v89, v226, v229                           // 000000009FE8: D1FF00E2 0797C559
	v_cndmask_b32_e64 v33, v226, v228, s[74:75]                // 000000009FF0: D1000021 012BC9E2
	v_and_or_b32 v82, v33, v227, v32                           // 000000009FF8: D2010052 0483C721
	v_cmp_u_f32_e64 s[74:75], v90, v90                         // 00000000A000: D048004A 0002B55A
	v_bfe_u32 v226, v90, 16, 1                                 // 00000000A008: D1C800E2 0205215A
	v_add3_u32 v226, v90, v226, v229                           // 00000000A010: D1FF00E2 0797C55A
	v_cndmask_b32_e64 v32, v226, v228, s[74:75]                // 00000000A018: D1000020 012BC9E2
	v_lshrrev_b32_e32 v32, 16, v32                             // 00000000A020: 20404090
	v_cmp_u_f32_e64 s[74:75], v91, v91                         // 00000000A024: D048004A 0002B75B
	v_bfe_u32 v226, v91, 16, 1                                 // 00000000A02C: D1C800E2 0205215B
	v_add3_u32 v226, v91, v226, v229                           // 00000000A034: D1FF00E2 0797C55B
	v_cndmask_b32_e64 v33, v226, v228, s[74:75]                // 00000000A03C: D1000021 012BC9E2
	v_and_or_b32 v83, v33, v227, v32                           // 00000000A044: D2010053 0483C721
	v_cmp_u_f32_e64 s[74:75], v92, v92                         // 00000000A04C: D048004A 0002B95C
	v_bfe_u32 v226, v92, 16, 1                                 // 00000000A054: D1C800E2 0205215C
	v_add3_u32 v226, v92, v226, v229                           // 00000000A05C: D1FF00E2 0797C55C
	v_cndmask_b32_e64 v32, v226, v228, s[74:75]                // 00000000A064: D1000020 012BC9E2
	v_lshrrev_b32_e32 v32, 16, v32                             // 00000000A06C: 20404090
	v_cmp_u_f32_e64 s[74:75], v93, v93                         // 00000000A070: D048004A 0002BB5D
	v_bfe_u32 v226, v93, 16, 1                                 // 00000000A078: D1C800E2 0205215D
	v_add3_u32 v226, v93, v226, v229                           // 00000000A080: D1FF00E2 0797C55D
	v_cndmask_b32_e64 v33, v226, v228, s[74:75]                // 00000000A088: D1000021 012BC9E2
	v_and_or_b32 v84, v33, v227, v32                           // 00000000A090: D2010054 0483C721
	v_cmp_u_f32_e64 s[74:75], v94, v94                         // 00000000A098: D048004A 0002BD5E
	v_bfe_u32 v226, v94, 16, 1                                 // 00000000A0A0: D1C800E2 0205215E
	v_add3_u32 v226, v94, v226, v229                           // 00000000A0A8: D1FF00E2 0797C55E
	v_cndmask_b32_e64 v32, v226, v228, s[74:75]                // 00000000A0B0: D1000020 012BC9E2
	v_lshrrev_b32_e32 v32, 16, v32                             // 00000000A0B8: 20404090
	v_cmp_u_f32_e64 s[74:75], v95, v95                         // 00000000A0BC: D048004A 0002BF5F
	v_bfe_u32 v226, v95, 16, 1                                 // 00000000A0C4: D1C800E2 0205215F
	v_add3_u32 v226, v95, v226, v229                           // 00000000A0CC: D1FF00E2 0797C55F
	v_cndmask_b32_e64 v33, v226, v228, s[74:75]                // 00000000A0D4: D1000021 012BC9E2
	v_and_or_b32 v85, v33, v227, v32                           // 00000000A0DC: D2010055 0483C721
	v_cmp_u_f32_e64 s[74:75], v96, v96                         // 00000000A0E4: D048004A 0002C160
	v_bfe_u32 v226, v96, 16, 1                                 // 00000000A0EC: D1C800E2 02052160
	v_add3_u32 v226, v96, v226, v229                           // 00000000A0F4: D1FF00E2 0797C560
	v_cndmask_b32_e64 v32, v226, v228, s[74:75]                // 00000000A0FC: D1000020 012BC9E2
	v_lshrrev_b32_e32 v32, 16, v32                             // 00000000A104: 20404090
	v_cmp_u_f32_e64 s[74:75], v97, v97                         // 00000000A108: D048004A 0002C361
	v_bfe_u32 v226, v97, 16, 1                                 // 00000000A110: D1C800E2 02052161
	v_add3_u32 v226, v97, v226, v229                           // 00000000A118: D1FF00E2 0797C561
	v_cndmask_b32_e64 v33, v226, v228, s[74:75]                // 00000000A120: D1000021 012BC9E2
	v_and_or_b32 v86, v33, v227, v32                           // 00000000A128: D2010056 0483C721
	v_cmp_u_f32_e64 s[74:75], v98, v98                         // 00000000A130: D048004A 0002C562
	v_bfe_u32 v226, v98, 16, 1                                 // 00000000A138: D1C800E2 02052162
	v_add3_u32 v226, v98, v226, v229                           // 00000000A140: D1FF00E2 0797C562
	v_cndmask_b32_e64 v32, v226, v228, s[74:75]                // 00000000A148: D1000020 012BC9E2
	v_lshrrev_b32_e32 v32, 16, v32                             // 00000000A150: 20404090
	v_cmp_u_f32_e64 s[74:75], v99, v99                         // 00000000A154: D048004A 0002C763
	v_bfe_u32 v226, v99, 16, 1                                 // 00000000A15C: D1C800E2 02052163
	v_add3_u32 v226, v99, v226, v229                           // 00000000A164: D1FF00E2 0797C563
	v_cndmask_b32_e64 v33, v226, v228, s[74:75]                // 00000000A16C: D1000021 012BC9E2
	v_and_or_b32 v87, v33, v227, v32                           // 00000000A174: D2010057 0483C721
	v_mfma_f32_16x16x16_bf16 v[190:193], v[138:139], v[170:171], v[190:193]// 00000000A17C: D3E100BE 06FB558A
	v_mov_b32_dpp v18, v82 quad_perm:[1,0,3,2] row_mask:0xf bank_mask:0xf// 00000000A184: 7E2402FA FF00B152
	v_perm_b32 v58, v18, v82, v17                              // 00000000A18C: D1ED003A 0446A512
	v_mov_b32_dpp v18, v83 quad_perm:[1,0,3,2] row_mask:0xf bank_mask:0xf// 00000000A194: 7E2402FA FF00B153
	v_perm_b32 v59, v18, v83, v17                              // 00000000A19C: D1ED003B 0446A712
	v_mov_b32_dpp v18, v84 quad_perm:[1,0,3,2] row_mask:0xf bank_mask:0xf// 00000000A1A4: 7E2402FA FF00B154
	v_perm_b32 v60, v18, v84, v17                              // 00000000A1AC: D1ED003C 0446A912
	v_mfma_f32_16x16x16_bf16 v[194:197], v[132:133], v[172:173], v[194:197]// 00000000A1B4: D3E100C2 070B5984
	ds_write_b32 v20, v58 offset:24320                         // 00000000A1BC: D81A5F00 00003A14
	ds_write_b32 v20, v59 offset:24864                         // 00000000A1C4: D81A6120 00003B14
	v_mfma_f32_16x16x16_bf16 v[198:201], v[134:135], v[172:173], v[198:201]// 00000000A1CC: D3E100C6 071B5986
	v_mov_b32_dpp v18, v85 quad_perm:[1,0,3,2] row_mask:0xf bank_mask:0xf// 00000000A1D4: 7E2402FA FF00B155
	v_perm_b32 v61, v18, v85, v17                              // 00000000A1DC: D1ED003D 0446AB12
	v_mov_b32_dpp v18, v86 quad_perm:[1,0,3,2] row_mask:0xf bank_mask:0xf// 00000000A1E4: 7E2402FA FF00B156
	v_perm_b32 v62, v18, v86, v17                              // 00000000A1EC: D1ED003E 0446AD12
	v_mov_b32_dpp v18, v87 quad_perm:[1,0,3,2] row_mask:0xf bank_mask:0xf// 00000000A1F4: 7E2402FA FF00B157
	v_perm_b32 v63, v18, v87, v17                              // 00000000A1FC: D1ED003F 0446AF12
	v_mfma_f32_16x16x16_bf16 v[202:205], v[136:137], v[172:173], v[202:205]// 00000000A204: D3E100CA 072B5988
	ds_write_b32 v20, v60 offset:26624                         // 00000000A20C: D81A6800 00003C14
	ds_write_b32 v20, v61 offset:27168                         // 00000000A214: D81A6A20 00003D14
	ds_write_b32 v20, v62 offset:28928                         // 00000000A21C: D81A7100 00003E14
	ds_write_b32 v20, v63 offset:29472                         // 00000000A224: D81A7320 00003F14
	v_mfma_f32_16x16x16_bf16 v[206:209], v[138:139], v[172:173], v[206:209]// 00000000A22C: D3E100CE 073B598A
	v_mfma_f32_16x16x16_bf16 v[210:213], v[132:133], v[174:175], v[210:213]// 00000000A234: D3E100D2 074B5D84
	ds_write_b32 v15, v100 offset:4352                         // 00000000A23C: D81A1100 0000640F
	ds_write_b32 v15, v101 offset:5408                         // 00000000A244: D81A1520 0000650F
	v_mfma_f32_16x16x16_bf16 v[214:217], v[134:135], v[174:175], v[214:217]// 00000000A24C: D3E100D6 075B5D86
	v_mfma_f32_16x16x16_bf16 v[218:221], v[136:137], v[174:175], v[218:221]// 00000000A254: D3E100DA 076B5D88
	ds_write_b32 v15, v102 offset:6528                         // 00000000A25C: D81A1980 0000660F
	ds_write_b32 v15, v103 offset:7584                         // 00000000A264: D81A1DA0 0000670F
	v_mfma_f32_16x16x16_bf16 v[222:225], v[138:139], v[174:175], v[222:225]// 00000000A26C: D3E100DE 077B5D8A
	s_nop 0                                                    // 00000000A274: BF800000
	s_nop 0                                                    // 00000000A278: BF800000
	s_nop 0                                                    // 00000000A27C: BF800000
	s_barrier                                                  // 00000000A280: BF8A0000
	v_mfma_f32_16x16x16_bf16 a[112:115], a[96:97], v[76:77], a[112:115]// 00000000A284: D3E18070 0DC29960
	ds_read_b32 v140, v23 offset:39424                         // 00000000A28C: D86C9A00 8C000017
	ds_read_b32 v144, v23 offset:39488                         // 00000000A294: D86C9A40 90000017
	ds_read_b32 v176, v23 offset:39680                         // 00000000A29C: D86C9B00 B0000017
	ds_read_b32 v177, v23 offset:39744                         // 00000000A2A4: D86C9B40 B1000017
	v_mfma_f32_16x16x16_bf16 a[116:119], a[98:99], v[76:77], a[116:119]// 00000000A2AC: D3E18074 0DD29962
	buffer_atomic_add_f32 v156, v6, s[32:35], 0 idxen          // 00000000A2B4: E1342000 80089C06
	v_mfma_f32_16x16x16_bf16 a[120:123], a[100:101], v[76:77], a[120:123]// 00000000A2BC: D3E18078 0DE29964
	s_waitcnt lgkmcnt(8)                                       // 00000000A2C4: BF8CC87F
	s_barrier                                                  // 00000000A2C8: BF8A0000
	v_mfma_f32_16x16x16_bf16 a[124:127], a[102:103], v[76:77], a[124:127]// 00000000A2CC: D3E1807C 0DF29966
	v_mfma_f32_16x16x16_bf16 a[128:131], a[96:97], v[78:79], a[128:131]// 00000000A2D4: D3E18080 0E029D60
	ds_read_b128 v[52:55], v19 offset:17408                    // 00000000A2DC: D9FE4400 34000013
	v_mfma_f32_16x16x16_bf16 a[132:135], a[98:99], v[78:79], a[132:135]// 00000000A2E4: D3E18084 0E129D62
	v_mfma_f32_16x16x16_bf16 a[136:139], a[100:101], v[78:79], a[136:139]// 00000000A2EC: D3E18088 0E229D64
	ds_read_b128 v[56:59], v19 offset:18560                    // 00000000A2F4: D9FE4880 38000013
	v_mfma_f32_16x16x16_bf16 a[140:143], a[102:103], v[78:79], a[140:143]// 00000000A2FC: D3E1808C 0E329D66
	buffer_atomic_add_f32 v157, v7, s[32:35], 0 idxen          // 00000000A304: E1342000 80089D07
	v_mfma_f32_16x16x16_bf16 a[144:147], a[96:97], v[80:81], a[144:147]// 00000000A30C: D3E18090 0E42A160
	ds_read_b128 v[60:63], v19 offset:19712                    // 00000000A314: D9FE4D00 3C000013
	v_mfma_f32_16x16x16_bf16 a[148:151], a[98:99], v[80:81], a[148:151]// 00000000A31C: D3E18094 0E52A162
	v_mfma_f32_16x16x16_bf16 a[152:155], a[100:101], v[80:81], a[152:155]// 00000000A324: D3E18098 0E62A164
	ds_read_b128 v[64:67], v19 offset:20864                    // 00000000A32C: D9FE5180 40000013
	v_mfma_f32_16x16x16_bf16 a[156:159], a[102:103], v[80:81], a[156:159]// 00000000A334: D3E1809C 0E72A166
	v_mfma_f32_16x16x16_bf16 a[112:115], a[104:105], v[82:83], a[112:115]// 00000000A33C: D3E18070 0DC2A568
	ds_read_b128 v[68:71], v19 offset:22016                    // 00000000A344: D9FE5600 44000013
	v_mfma_f32_16x16x16_bf16 a[116:119], a[106:107], v[82:83], a[116:119]// 00000000A34C: D3E18074 0DD2A56A
	buffer_atomic_add_f32 v158, v6, s[32:35], 0 idxen offset:128// 00000000A354: E1342080 80089E06
	v_mfma_f32_16x16x16_bf16 a[120:123], a[108:109], v[82:83], a[120:123]// 00000000A35C: D3E18078 0DE2A56C
	ds_read_b128 v[72:75], v19 offset:23168                    // 00000000A364: D9FE5A80 48000013
	v_mfma_f32_16x16x16_bf16 a[124:127], a[110:111], v[82:83], a[124:127]// 00000000A36C: D3E1807C 0DF2A56E
	v_mfma_f32_16x16x16_bf16 a[128:131], a[104:105], v[84:85], a[128:131]// 00000000A374: D3E18080 0E02A968
	ds_write_b32 v15, v104 offset:13056                        // 00000000A37C: D81A3300 0000680F
	v_mfma_f32_16x16x16_bf16 a[132:135], a[106:107], v[84:85], a[132:135]// 00000000A384: D3E18084 0E12A96A
	v_mfma_f32_16x16x16_bf16 a[136:139], a[108:109], v[84:85], a[136:139]// 00000000A38C: D3E18088 0E22A96C
	ds_write_b32 v15, v105 offset:14112                        // 00000000A394: D81A3720 0000690F
	v_mfma_f32_16x16x16_bf16 a[140:143], a[110:111], v[84:85], a[140:143]// 00000000A39C: D3E1808C 0E32A96E
	buffer_atomic_add_f32 v159, v7, s[32:35], 0 idxen offset:128// 00000000A3A4: E1342080 80089F07
	v_mfma_f32_16x16x16_bf16 a[144:147], a[104:105], v[86:87], a[144:147]// 00000000A3AC: D3E18090 0E42AD68
	ds_write_b32 v15, v106 offset:15232                        // 00000000A3B4: D81A3B80 00006A0F
	v_mfma_f32_16x16x16_bf16 a[148:151], a[106:107], v[86:87], a[148:151]// 00000000A3BC: D3E18094 0E52AD6A
	v_mfma_f32_16x16x16_bf16 a[152:155], a[108:109], v[86:87], a[152:155]// 00000000A3C4: D3E18098 0E62AD6C
	ds_write_b32 v15, v107 offset:16288                        // 00000000A3CC: D81A3FA0 00006B0F
	v_mfma_f32_16x16x16_bf16 a[156:159], a[110:111], v[86:87], a[156:159]// 00000000A3D4: D3E1809C 0E72AD6E
	s_waitcnt vmcnt(8) lgkmcnt(4)                              // 00000000A3DC: BF8C0478
	s_barrier                                                  // 00000000A3E0: BF8A0000
	v_mfma_f32_16x16x16_bf16 v[148:151], v[52:53], a[24:25], 0 // 00000000A3E4: D3E10094 12023134
	ds_read_b128 a[96:99], v12                                 // 00000000A3EC: DBFE0000 6000000C
	buffer_load_dword v36, v1, s[8:11], 0 idxen                // 00000000A3F4: E0502000 80022401
	v_mfma_f32_16x16x16_bf16 v[148:151], v[54:55], a[28:29], v[148:151]// 00000000A3FC: D3E10094 16523936
	v_mul_f32_e32 v140, s48, v140                              // 00000000A404: 0B191830
	v_mul_f32_e32 v144, s48, v144                              // 00000000A408: 0B212030
	s_nop 0                                                    // 00000000A40C: BF800000
	v_mfma_f32_16x16x16_bf16 v[148:151], v[56:57], a[32:33], v[148:151]// 00000000A410: D3E10094 16524138
	ds_read_b128 a[100:103], v12 offset:512                    // 00000000A418: DBFE0200 6400000C
	buffer_load_dword v37, v2, s[8:11], 0 idxen                // 00000000A420: E0502000 80022502
	v_mfma_f32_16x16x16_bf16 v[148:151], v[58:59], a[36:37], v[148:151]// 00000000A428: D3E10094 1652493A
	v_mfma_f32_16x16x16_bf16 v[148:151], v[60:61], a[40:41], v[148:151]// 00000000A430: D3E10094 1652513C
	ds_read_b128 a[104:107], v12 offset:2176                   // 00000000A438: DBFE0880 6800000C
	buffer_load_dword v38, v3, s[8:11], 0 idxen                // 00000000A440: E0502000 80022603
	v_mfma_f32_16x16x16_bf16 v[148:151], v[62:63], a[44:45], v[148:151]// 00000000A448: D3E10094 1652593E
	v_perm_b32 v100, v41, v40, s63                             // 00000000A450: D1ED0064 00FE5129
	v_perm_b32 v101, v41, v40, s64                             // 00000000A458: D1ED0065 01025129
	v_mfma_f32_16x16x16_bf16 v[148:151], v[64:65], a[48:49], v[148:151]// 00000000A460: D3E10094 16526140
	ds_read_b128 a[108:111], v12 offset:2688                   // 00000000A468: DBFE0A80 6C00000C
	buffer_load_dword v39, v4, s[8:11], 0 idxen                // 00000000A470: E0502000 80022704
	v_mfma_f32_16x16x16_bf16 v[148:151], v[66:67], a[52:53], v[148:151]// 00000000A478: D3E10094 16526942
	v_perm_b32 v102, v43, v42, s63                             // 00000000A480: D1ED0066 00FE552B
	v_perm_b32 v103, v43, v42, s64                             // 00000000A488: D1ED0067 0102552B
	v_mfma_f32_16x16x16_bf16 v[148:151], v[68:69], a[56:57], v[148:151]// 00000000A490: D3E10094 16527144
	ds_read_b128 v[108:111], v12 offset:8704                   // 00000000A498: D9FE2200 6C00000C
	buffer_load_dword v44, v231, s[20:23], 0 idxen             // 00000000A4A0: E0502000 80052CE7
	v_mfma_f32_16x16x16_bf16 v[148:151], v[70:71], a[60:61], v[148:151]// 00000000A4A8: D3E10094 16527946
	v_perm_b32 v104, v49, v48, s63                             // 00000000A4B0: D1ED0068 00FE6131
	v_perm_b32 v105, v49, v48, s64                             // 00000000A4B8: D1ED0069 01026131
	v_mfma_f32_16x16x16_bf16 v[148:151], v[72:73], a[64:65], v[148:151]// 00000000A4C0: D3E10094 16528148
	ds_read_b128 v[112:115], v12 offset:9216                   // 00000000A4C8: D9FE2400 7000000C
	buffer_load_dword v45, v232, s[20:23], 0 idxen             // 00000000A4D0: E0502000 80052DE8
	v_mfma_f32_16x16x16_bf16 v[148:151], v[74:75], a[68:69], v[148:151]// 00000000A4D8: D3E10094 1652894A
	v_perm_b32 v106, v51, v50, s63                             // 00000000A4E0: D1ED006A 00FE6533
	v_perm_b32 v107, v51, v50, s64                             // 00000000A4E8: D1ED006B 01026533
	v_mfma_f32_16x16x16_bf16 v[152:155], v[52:53], a[26:27], 0 // 00000000A4F0: D3E10098 12023534
	ds_read_b128 v[116:119], v12 offset:10880                  // 00000000A4F8: D9FE2A80 7400000C
	buffer_load_dword v46, v233, s[20:23], 0 idxen             // 00000000A500: E0502000 80052EE9
	v_mfma_f32_16x16x16_bf16 v[152:155], v[54:55], a[30:31], v[152:155]// 00000000A508: D3E10098 16623D36
	v_mov_b32_dpp v143, v140 quad_perm:[3,3,3,3] row_mask:0xf bank_mask:0xf// 00000000A510: 7F1E02FA FF00FF8C
	v_mov_b32_dpp v142, v140 quad_perm:[2,2,2,2] row_mask:0xf bank_mask:0xf// 00000000A518: 7F1C02FA FF00AA8C
	v_mov_b32_dpp v141, v140 quad_perm:[1,1,1,1] row_mask:0xf bank_mask:0xf// 00000000A520: 7F1A02FA FF00558C
	v_mov_b32_dpp v140, v140 quad_perm:[0,0,0,0] row_mask:0xf bank_mask:0xf// 00000000A528: 7F1802FA FF00008C
	v_mfma_f32_16x16x16_bf16 v[152:155], v[56:57], a[34:35], v[152:155]// 00000000A530: D3E10098 16624538
	ds_read_b128 v[120:123], v12 offset:11392                  // 00000000A538: D9FE2C80 7800000C
	buffer_load_dword v47, v234, s[20:23], 0 idxen             // 00000000A540: E0502000 80052FEA
	v_mfma_f32_16x16x16_bf16 v[152:155], v[58:59], a[38:39], v[152:155]// 00000000A548: D3E10098 16624D3A
	v_mov_b32_dpp v147, v144 quad_perm:[3,3,3,3] row_mask:0xf bank_mask:0xf// 00000000A550: 7F2602FA FF00FF90
	v_mov_b32_dpp v146, v144 quad_perm:[2,2,2,2] row_mask:0xf bank_mask:0xf// 00000000A558: 7F2402FA FF00AA90
	v_mov_b32_dpp v145, v144 quad_perm:[1,1,1,1] row_mask:0xf bank_mask:0xf// 00000000A560: 7F2202FA FF005590
	v_mov_b32_dpp v144, v144 quad_perm:[0,0,0,0] row_mask:0xf bank_mask:0xf// 00000000A568: 7F2002FA FF000090
	s_add_u32 s60, 0x80, s59                                   // 00000000A570: 803C3BFF 00000080
	v_mfma_f32_16x16x16_bf16 v[152:155], v[60:61], a[42:43], v[152:155]// 00000000A578: D3E10098 1662553C
	buffer_load_dword v11, s[24:27], 0 idxen lds               // 00000000A580: E0512000 8006000B
	v_mfma_f32_16x16x16_bf16 v[152:155], v[62:63], a[46:47], v[152:155]// 00000000A588: D3E10098 16625D3E
	s_cmp_lt_u32 s60, s58                                      // 00000000A590: BF0A3A3C
	s_cselect_b32 s68, s68, 0                                  // 00000000A594: 85448044
	s_cselect_b32 s95, s95, 0                                  // 00000000A598: 855F805F
	s_cselect_b32 s69, s69, 0                                  // 00000000A59C: 85458045
	v_mfma_f32_16x16x16_bf16 v[152:155], v[64:65], a[50:51], v[152:155]// 00000000A5A0: D3E10098 16626540
	v_add_u32_e32 v1, s68, v1                                  // 00000000A5A8: 68020244
	v_add_u32_e32 v2, s68, v2                                  // 00000000A5AC: 68040444
	v_add_u32_e32 v3, s68, v3                                  // 00000000A5B0: 68060644
	v_add_u32_e32 v4, s68, v4                                  // 00000000A5B4: 68080844
	v_mfma_f32_16x16x16_bf16 v[152:155], v[66:67], a[54:55], v[152:155]// 00000000A5B8: D3E10098 16626D42
	v_add_u32_e32 v231, s95, v231                              // 00000000A5C0: 69CFCE5F
	v_add_u32_e32 v232, s95, v232                              // 00000000A5C4: 69D1D05F
	v_add_u32_e32 v233, s95, v233                              // 00000000A5C8: 69D3D25F
	v_add_u32_e32 v234, s95, v234                              // 00000000A5CC: 69D5D45F
	v_mfma_f32_16x16x16_bf16 v[152:155], v[68:69], a[58:59], v[152:155]// 00000000A5D0: D3E10098 16627544
	s_mov_b32 m0, s77                                          // 00000000A5D8: BEFC004D
	v_add_u32_e32 v11, s69, v11                                // 00000000A5DC: 68161645
	v_mfma_f32_16x16x16_bf16 v[152:155], v[70:71], a[62:63], v[152:155]// 00000000A5E0: D3E10098 16627D46
	s_cmp_ge_u32 s59, 32                                       // 00000000A5E8: BF09A03B
	s_cselect_b32 s66, s67, s66                                // 00000000A5EC: 85424243
	v_mfma_f32_16x16x16_bf16 v[152:155], v[72:73], a[66:67], v[152:155]// 00000000A5F0: D3E10098 16628548
	s_addk_i32 s59, 0x20                                       // 00000000A5F8: B73B0020
	s_nop 0                                                    // 00000000A5FC: BF800000
	s_cmp_lt_i32 s59, s58                                      // 00000000A600: BF043A3B
	v_mfma_f32_16x16x16_bf16 v[152:155], v[74:75], a[70:71], v[152:155]// 00000000A604: D3E10098 16628D4A
	s_cbranch_scc0 label_0FE1                                  // 00000000A60C: BF84F64B
	s_branch label_0FE4                                        // 00000000A610: BF82F64D

000000000000a614 <label_19A9>:
	buffer_atomic_add_f32 v160, v8, s[32:35], 0 idxen          // 00000000A614: E1342000 8008A008
	buffer_atomic_add_f32 v161, v9, s[32:35], 0 idxen          // 00000000A61C: E1342000 8008A109
	buffer_atomic_add_f32 v162, v8, s[32:35], 0 idxen offset:128// 00000000A624: E1342080 8008A208
	buffer_atomic_add_f32 v163, v9, s[32:35], 0 idxen offset:128// 00000000A62C: E1342080 8008A309
	v_add_u32_e32 v6, s66, v6                                  // 00000000A634: 680C0C42
	v_add_u32_e32 v7, s66, v7                                  // 00000000A638: 680E0E42
	v_add_u32_e32 v8, s66, v8                                  // 00000000A63C: 68101042
	v_add_u32_e32 v9, s66, v9                                  // 00000000A640: 68121242
	v_lshrrev_b32_e32 v32, 5, v0                               // 00000000A644: 20400085
	v_mul_i32_i24_e32 v27, 0x44, v32                           // 00000000A648: 0C3640FF 00000044
	v_and_b32_e32 v32, 31, v0                                  // 00000000A650: 2640009F
	v_mul_i32_i24_e32 v33, 2, v32                              // 00000000A654: 0C424082
	v_add_u32_e32 v27, v33, v27                                // 00000000A658: 68363721
	s_mul_i32 s60, s46, 0x220                                  // 00000000A65C: 923CFF2E 00000220
	v_add_u32_e32 v27, s60, v27                                // 00000000A664: 6836363C
	v_lshlrev_b32_e32 v27, 2, v27                              // 00000000A668: 24363682
	v_mul_f32_e32 v148, s47, v148                              // 00000000A66C: 0B29282F
	v_mul_f32_e32 v149, s47, v149                              // 00000000A670: 0B2B2A2F
	v_mul_f32_e32 v150, s47, v150                              // 00000000A674: 0B2D2C2F
	v_mul_f32_e32 v151, s47, v151                              // 00000000A678: 0B2F2E2F
	v_mul_f32_e32 v152, s47, v152                              // 00000000A67C: 0B31302F
	v_mul_f32_e32 v153, s47, v153                              // 00000000A680: 0B33322F
	v_mul_f32_e32 v154, s47, v154                              // 00000000A684: 0B35342F
	v_mul_f32_e32 v155, s47, v155                              // 00000000A688: 0B37362F
	ds_write_b64 v22, v[148:149] offset:31232                  // 00000000A68C: D89A7A00 00009416
	ds_write_b64 v22, v[150:151] offset:31744                  // 00000000A694: D89A7C00 00009616
	ds_write_b64 v22, v[152:153] offset:32256                  // 00000000A69C: D89A7E00 00009816
	ds_write_b64 v22, v[154:155] offset:32768                  // 00000000A6A4: D89A8000 00009A16
	s_waitcnt lgkmcnt(0)                                       // 00000000A6AC: BF8CC07F
	s_barrier                                                  // 00000000A6B0: BF8A0000
	ds_read_b64 v[156:157], v21 offset:31232                   // 00000000A6B4: D8EC7A00 9C000015
	ds_read_b64 v[158:159], v21 offset:33280                   // 00000000A6BC: D8EC8200 9E000015
	ds_read_b64 v[160:161], v21 offset:35328                   // 00000000A6C4: D8EC8A00 A0000015
	ds_read_b64 v[162:163], v21 offset:37376                   // 00000000A6CC: D8EC9200 A2000015
	s_waitcnt lgkmcnt(0)                                       // 00000000A6D4: BF8CC07F
	s_barrier                                                  // 00000000A6D8: BF8A0000
	buffer_atomic_add_f32 v156, v6, s[32:35], 0 idxen          // 00000000A6DC: E1342000 80089C06
	buffer_atomic_add_f32 v157, v7, s[32:35], 0 idxen          // 00000000A6E4: E1342000 80089D07
	buffer_atomic_add_f32 v158, v6, s[32:35], 0 idxen offset:128// 00000000A6EC: E1342080 80089E06
	buffer_atomic_add_f32 v159, v7, s[32:35], 0 idxen offset:128// 00000000A6F4: E1342080 80089F07
	buffer_atomic_add_f32 v160, v8, s[32:35], 0 idxen          // 00000000A6FC: E1342000 8008A008
	buffer_atomic_add_f32 v161, v9, s[32:35], 0 idxen          // 00000000A704: E1342000 8008A109
	buffer_atomic_add_f32 v162, v8, s[32:35], 0 idxen offset:128// 00000000A70C: E1342080 8008A208
	buffer_atomic_add_f32 v163, v9, s[32:35], 0 idxen offset:128// 00000000A714: E1342080 8008A309
	v_lshrrev_b32_e32 v32, 3, v0                               // 00000000A71C: 20400083
	v_mul_i32_i24_e32 v26, 2, v32                              // 00000000A720: 0C344082
	v_and_b32_e32 v32, 7, v0                                   // 00000000A724: 26400087
	v_mul_i32_i24_e32 v33, 0x44, v32                           // 00000000A728: 0C4240FF 00000044
	v_add_u32_e32 v26, v33, v26                                // 00000000A730: 68343521
	s_mul_i32 s60, s46, 0x220                                  // 00000000A734: 923CFF2E 00000220
	v_add_u32_e32 v26, s60, v26                                // 00000000A73C: 6834343C
	v_lshlrev_b32_e32 v26, 2, v26                              // 00000000A740: 24343482
	v_accvgpr_read_b32 v34, a112                               // 00000000A744: D3D84022 18000170
	v_accvgpr_read_b32 v35, a113                               // 00000000A74C: D3D84023 18000171
	v_mul_f32_e32 v34, s47, v34                                // 00000000A754: 0A44442F
	v_mul_f32_e32 v35, s47, v35                                // 00000000A758: 0A46462F
	v_cmp_u_f32_e64 s[74:75], v34, v34                         // 00000000A75C: D048004A 00024522
	v_bfe_u32 v226, v34, 16, 1                                 // 00000000A764: D1C800E2 02052122
	v_add3_u32 v226, v34, v226, v229                           // 00000000A76C: D1FF00E2 0797C522
	v_cndmask_b32_e64 v32, v226, v228, s[74:75]                // 00000000A774: D1000020 012BC9E2
	v_lshrrev_b32_e32 v32, 16, v32                             // 00000000A77C: 20404090
	v_cmp_u_f32_e64 s[74:75], v35, v35                         // 00000000A780: D048004A 00024723
	v_bfe_u32 v226, v35, 16, 1                                 // 00000000A788: D1C800E2 02052123
	v_add3_u32 v226, v35, v226, v229                           // 00000000A790: D1FF00E2 0797C523
	v_cndmask_b32_e64 v33, v226, v228, s[74:75]                // 00000000A798: D1000021 012BC9E2
	v_and_or_b32 v52, v33, v227, v32                           // 00000000A7A0: D2010034 0483C721
	v_accvgpr_read_b32 v34, a114                               // 00000000A7A8: D3D84022 18000172
	v_accvgpr_read_b32 v35, a115                               // 00000000A7B0: D3D84023 18000173
	v_mul_f32_e32 v34, s47, v34                                // 00000000A7B8: 0A44442F
	v_mul_f32_e32 v35, s47, v35                                // 00000000A7BC: 0A46462F
	v_cmp_u_f32_e64 s[74:75], v34, v34                         // 00000000A7C0: D048004A 00024522
	v_bfe_u32 v226, v34, 16, 1                                 // 00000000A7C8: D1C800E2 02052122
	v_add3_u32 v226, v34, v226, v229                           // 00000000A7D0: D1FF00E2 0797C522
	v_cndmask_b32_e64 v32, v226, v228, s[74:75]                // 00000000A7D8: D1000020 012BC9E2
	v_lshrrev_b32_e32 v32, 16, v32                             // 00000000A7E0: 20404090
	v_cmp_u_f32_e64 s[74:75], v35, v35                         // 00000000A7E4: D048004A 00024723
	v_bfe_u32 v226, v35, 16, 1                                 // 00000000A7EC: D1C800E2 02052123
	v_add3_u32 v226, v35, v226, v229                           // 00000000A7F4: D1FF00E2 0797C523
	v_cndmask_b32_e64 v33, v226, v228, s[74:75]                // 00000000A7FC: D1000021 012BC9E2
	v_and_or_b32 v53, v33, v227, v32                           // 00000000A804: D2010035 0483C721
	v_accvgpr_read_b32 v34, a116                               // 00000000A80C: D3D84022 18000174
	v_accvgpr_read_b32 v35, a117                               // 00000000A814: D3D84023 18000175
	v_mul_f32_e32 v34, s47, v34                                // 00000000A81C: 0A44442F
	v_mul_f32_e32 v35, s47, v35                                // 00000000A820: 0A46462F
	v_cmp_u_f32_e64 s[74:75], v34, v34                         // 00000000A824: D048004A 00024522
	v_bfe_u32 v226, v34, 16, 1                                 // 00000000A82C: D1C800E2 02052122
	v_add3_u32 v226, v34, v226, v229                           // 00000000A834: D1FF00E2 0797C522
	v_cndmask_b32_e64 v32, v226, v228, s[74:75]                // 00000000A83C: D1000020 012BC9E2
	v_lshrrev_b32_e32 v32, 16, v32                             // 00000000A844: 20404090
	v_cmp_u_f32_e64 s[74:75], v35, v35                         // 00000000A848: D048004A 00024723
	v_bfe_u32 v226, v35, 16, 1                                 // 00000000A850: D1C800E2 02052123
	v_add3_u32 v226, v35, v226, v229                           // 00000000A858: D1FF00E2 0797C523
	v_cndmask_b32_e64 v33, v226, v228, s[74:75]                // 00000000A860: D1000021 012BC9E2
	v_and_or_b32 v54, v33, v227, v32                           // 00000000A868: D2010036 0483C721
	v_accvgpr_read_b32 v34, a118                               // 00000000A870: D3D84022 18000176
	v_accvgpr_read_b32 v35, a119                               // 00000000A878: D3D84023 18000177
	v_mul_f32_e32 v34, s47, v34                                // 00000000A880: 0A44442F
	v_mul_f32_e32 v35, s47, v35                                // 00000000A884: 0A46462F
	v_cmp_u_f32_e64 s[74:75], v34, v34                         // 00000000A888: D048004A 00024522
	v_bfe_u32 v226, v34, 16, 1                                 // 00000000A890: D1C800E2 02052122
	v_add3_u32 v226, v34, v226, v229                           // 00000000A898: D1FF00E2 0797C522
	v_cndmask_b32_e64 v32, v226, v228, s[74:75]                // 00000000A8A0: D1000020 012BC9E2
	v_lshrrev_b32_e32 v32, 16, v32                             // 00000000A8A8: 20404090
	v_cmp_u_f32_e64 s[74:75], v35, v35                         // 00000000A8AC: D048004A 00024723
	v_bfe_u32 v226, v35, 16, 1                                 // 00000000A8B4: D1C800E2 02052123
	v_add3_u32 v226, v35, v226, v229                           // 00000000A8BC: D1FF00E2 0797C523
	v_cndmask_b32_e64 v33, v226, v228, s[74:75]                // 00000000A8C4: D1000021 012BC9E2
	v_and_or_b32 v55, v33, v227, v32                           // 00000000A8CC: D2010037 0483C721
	v_accvgpr_read_b32 v34, a120                               // 00000000A8D4: D3D84022 18000178
	v_accvgpr_read_b32 v35, a121                               // 00000000A8DC: D3D84023 18000179
	v_mul_f32_e32 v34, s47, v34                                // 00000000A8E4: 0A44442F
	v_mul_f32_e32 v35, s47, v35                                // 00000000A8E8: 0A46462F
	v_cmp_u_f32_e64 s[74:75], v34, v34                         // 00000000A8EC: D048004A 00024522
	v_bfe_u32 v226, v34, 16, 1                                 // 00000000A8F4: D1C800E2 02052122
	v_add3_u32 v226, v34, v226, v229                           // 00000000A8FC: D1FF00E2 0797C522
	v_cndmask_b32_e64 v32, v226, v228, s[74:75]                // 00000000A904: D1000020 012BC9E2
	v_lshrrev_b32_e32 v32, 16, v32                             // 00000000A90C: 20404090
	v_cmp_u_f32_e64 s[74:75], v35, v35                         // 00000000A910: D048004A 00024723
	v_bfe_u32 v226, v35, 16, 1                                 // 00000000A918: D1C800E2 02052123
	v_add3_u32 v226, v35, v226, v229                           // 00000000A920: D1FF00E2 0797C523
	v_cndmask_b32_e64 v33, v226, v228, s[74:75]                // 00000000A928: D1000021 012BC9E2
	v_and_or_b32 v56, v33, v227, v32                           // 00000000A930: D2010038 0483C721
	v_accvgpr_read_b32 v34, a122                               // 00000000A938: D3D84022 1800017A
	v_accvgpr_read_b32 v35, a123                               // 00000000A940: D3D84023 1800017B
	v_mul_f32_e32 v34, s47, v34                                // 00000000A948: 0A44442F
	v_mul_f32_e32 v35, s47, v35                                // 00000000A94C: 0A46462F
	v_cmp_u_f32_e64 s[74:75], v34, v34                         // 00000000A950: D048004A 00024522
	v_bfe_u32 v226, v34, 16, 1                                 // 00000000A958: D1C800E2 02052122
	v_add3_u32 v226, v34, v226, v229                           // 00000000A960: D1FF00E2 0797C522
	v_cndmask_b32_e64 v32, v226, v228, s[74:75]                // 00000000A968: D1000020 012BC9E2
	v_lshrrev_b32_e32 v32, 16, v32                             // 00000000A970: 20404090
	v_cmp_u_f32_e64 s[74:75], v35, v35                         // 00000000A974: D048004A 00024723
	v_bfe_u32 v226, v35, 16, 1                                 // 00000000A97C: D1C800E2 02052123
	v_add3_u32 v226, v35, v226, v229                           // 00000000A984: D1FF00E2 0797C523
	v_cndmask_b32_e64 v33, v226, v228, s[74:75]                // 00000000A98C: D1000021 012BC9E2
	v_and_or_b32 v57, v33, v227, v32                           // 00000000A994: D2010039 0483C721
	v_accvgpr_read_b32 v34, a124                               // 00000000A99C: D3D84022 1800017C
	v_accvgpr_read_b32 v35, a125                               // 00000000A9A4: D3D84023 1800017D
	v_mul_f32_e32 v34, s47, v34                                // 00000000A9AC: 0A44442F
	v_mul_f32_e32 v35, s47, v35                                // 00000000A9B0: 0A46462F
	v_cmp_u_f32_e64 s[74:75], v34, v34                         // 00000000A9B4: D048004A 00024522
	v_bfe_u32 v226, v34, 16, 1                                 // 00000000A9BC: D1C800E2 02052122
	v_add3_u32 v226, v34, v226, v229                           // 00000000A9C4: D1FF00E2 0797C522
	v_cndmask_b32_e64 v32, v226, v228, s[74:75]                // 00000000A9CC: D1000020 012BC9E2
	v_lshrrev_b32_e32 v32, 16, v32                             // 00000000A9D4: 20404090
	v_cmp_u_f32_e64 s[74:75], v35, v35                         // 00000000A9D8: D048004A 00024723
	v_bfe_u32 v226, v35, 16, 1                                 // 00000000A9E0: D1C800E2 02052123
	v_add3_u32 v226, v35, v226, v229                           // 00000000A9E8: D1FF00E2 0797C523
	v_cndmask_b32_e64 v33, v226, v228, s[74:75]                // 00000000A9F0: D1000021 012BC9E2
	v_and_or_b32 v58, v33, v227, v32                           // 00000000A9F8: D201003A 0483C721
	v_accvgpr_read_b32 v34, a126                               // 00000000AA00: D3D84022 1800017E
	v_accvgpr_read_b32 v35, a127                               // 00000000AA08: D3D84023 1800017F
	v_mul_f32_e32 v34, s47, v34                                // 00000000AA10: 0A44442F
	v_mul_f32_e32 v35, s47, v35                                // 00000000AA14: 0A46462F
	v_cmp_u_f32_e64 s[74:75], v34, v34                         // 00000000AA18: D048004A 00024522
	v_bfe_u32 v226, v34, 16, 1                                 // 00000000AA20: D1C800E2 02052122
	v_add3_u32 v226, v34, v226, v229                           // 00000000AA28: D1FF00E2 0797C522
	v_cndmask_b32_e64 v32, v226, v228, s[74:75]                // 00000000AA30: D1000020 012BC9E2
	v_lshrrev_b32_e32 v32, 16, v32                             // 00000000AA38: 20404090
	v_cmp_u_f32_e64 s[74:75], v35, v35                         // 00000000AA3C: D048004A 00024723
	v_bfe_u32 v226, v35, 16, 1                                 // 00000000AA44: D1C800E2 02052123
	v_add3_u32 v226, v35, v226, v229                           // 00000000AA4C: D1FF00E2 0797C523
	v_cndmask_b32_e64 v33, v226, v228, s[74:75]                // 00000000AA54: D1000021 012BC9E2
	v_and_or_b32 v59, v33, v227, v32                           // 00000000AA5C: D201003B 0483C721
	ds_write_b64 v27, v[52:53]                                 // 00000000AA64: D89A0000 0000341B
	ds_write_b64 v27, v[54:55] offset:544                      // 00000000AA6C: D89A0220 0000361B
	ds_write_b64 v27, v[56:57] offset:1088                     // 00000000AA74: D89A0440 0000381B
	ds_write_b64 v27, v[58:59] offset:1632                     // 00000000AA7C: D89A0660 00003A1B
	s_waitcnt lgkmcnt(0)                                       // 00000000AA84: BF8CC07F
	s_barrier                                                  // 00000000AA88: BF8A0000
	ds_read_b64 v[52:53], v26                                  // 00000000AA8C: D8EC0000 3400001A
	ds_read_b64 v[54:55], v26 offset:128                       // 00000000AA94: D8EC0080 3600001A
	ds_read_b64 v[56:57], v26 offset:64                        // 00000000AA9C: D8EC0040 3800001A
	ds_read_b64 v[58:59], v26 offset:192                       // 00000000AAA4: D8EC00C0 3A00001A
	s_waitcnt lgkmcnt(0)                                       // 00000000AAAC: BF8CC07F
	s_mov_b32 s70, s52                                         // 00000000AAB0: BEC60034
	buffer_store_dwordx4 v[52:55], v5, s[36:39], 0 idxen       // 00000000AAB4: E07C2000 80093405
	s_mul_i32 s60, 2, s70                                      // 00000000AABC: 923C4682
	v_add_u32_e32 v5, s60, v5                                  // 00000000AAC0: 680A0A3C
	buffer_store_dwordx4 v[56:59], v5, s[36:39], 0 idxen       // 00000000AAC4: E07C2000 80093805
	s_mul_i32 s60, 2, s70                                      // 00000000AACC: 923C4682
	v_add_u32_e32 v5, s60, v5                                  // 00000000AAD0: 680A0A3C
	s_mul_i32 s60, 12, s70                                     // 00000000AAD4: 923C468C
	v_add_u32_e32 v5, s60, v5                                  // 00000000AAD8: 680A0A3C
	s_barrier                                                  // 00000000AADC: BF8A0000
	s_cmp_ge_i32 1, s73                                        // 00000000AAE0: BF034981
	s_cbranch_scc1 label_1CB0                                  // 00000000AAE4: BF8501D2
	v_accvgpr_read_b32 v34, a128                               // 00000000AAE8: D3D84022 18000180
	v_accvgpr_read_b32 v35, a129                               // 00000000AAF0: D3D84023 18000181
	v_mul_f32_e32 v34, s47, v34                                // 00000000AAF8: 0A44442F
	v_mul_f32_e32 v35, s47, v35                                // 00000000AAFC: 0A46462F
	v_cmp_u_f32_e64 s[74:75], v34, v34                         // 00000000AB00: D048004A 00024522
	v_bfe_u32 v226, v34, 16, 1                                 // 00000000AB08: D1C800E2 02052122
	v_add3_u32 v226, v34, v226, v229                           // 00000000AB10: D1FF00E2 0797C522
	v_cndmask_b32_e64 v32, v226, v228, s[74:75]                // 00000000AB18: D1000020 012BC9E2
	v_lshrrev_b32_e32 v32, 16, v32                             // 00000000AB20: 20404090
	v_cmp_u_f32_e64 s[74:75], v35, v35                         // 00000000AB24: D048004A 00024723
	v_bfe_u32 v226, v35, 16, 1                                 // 00000000AB2C: D1C800E2 02052123
	v_add3_u32 v226, v35, v226, v229                           // 00000000AB34: D1FF00E2 0797C523
	v_cndmask_b32_e64 v33, v226, v228, s[74:75]                // 00000000AB3C: D1000021 012BC9E2
	v_and_or_b32 v60, v33, v227, v32                           // 00000000AB44: D201003C 0483C721
	v_accvgpr_read_b32 v34, a130                               // 00000000AB4C: D3D84022 18000182
	v_accvgpr_read_b32 v35, a131                               // 00000000AB54: D3D84023 18000183
	v_mul_f32_e32 v34, s47, v34                                // 00000000AB5C: 0A44442F
	v_mul_f32_e32 v35, s47, v35                                // 00000000AB60: 0A46462F
	v_cmp_u_f32_e64 s[74:75], v34, v34                         // 00000000AB64: D048004A 00024522
	v_bfe_u32 v226, v34, 16, 1                                 // 00000000AB6C: D1C800E2 02052122
	v_add3_u32 v226, v34, v226, v229                           // 00000000AB74: D1FF00E2 0797C522
	v_cndmask_b32_e64 v32, v226, v228, s[74:75]                // 00000000AB7C: D1000020 012BC9E2
	v_lshrrev_b32_e32 v32, 16, v32                             // 00000000AB84: 20404090
	v_cmp_u_f32_e64 s[74:75], v35, v35                         // 00000000AB88: D048004A 00024723
	v_bfe_u32 v226, v35, 16, 1                                 // 00000000AB90: D1C800E2 02052123
	v_add3_u32 v226, v35, v226, v229                           // 00000000AB98: D1FF00E2 0797C523
	v_cndmask_b32_e64 v33, v226, v228, s[74:75]                // 00000000ABA0: D1000021 012BC9E2
	v_and_or_b32 v61, v33, v227, v32                           // 00000000ABA8: D201003D 0483C721
	v_accvgpr_read_b32 v34, a132                               // 00000000ABB0: D3D84022 18000184
	v_accvgpr_read_b32 v35, a133                               // 00000000ABB8: D3D84023 18000185
	v_mul_f32_e32 v34, s47, v34                                // 00000000ABC0: 0A44442F
	v_mul_f32_e32 v35, s47, v35                                // 00000000ABC4: 0A46462F
	v_cmp_u_f32_e64 s[74:75], v34, v34                         // 00000000ABC8: D048004A 00024522
	v_bfe_u32 v226, v34, 16, 1                                 // 00000000ABD0: D1C800E2 02052122
	v_add3_u32 v226, v34, v226, v229                           // 00000000ABD8: D1FF00E2 0797C522
	v_cndmask_b32_e64 v32, v226, v228, s[74:75]                // 00000000ABE0: D1000020 012BC9E2
	v_lshrrev_b32_e32 v32, 16, v32                             // 00000000ABE8: 20404090
	v_cmp_u_f32_e64 s[74:75], v35, v35                         // 00000000ABEC: D048004A 00024723
	v_bfe_u32 v226, v35, 16, 1                                 // 00000000ABF4: D1C800E2 02052123
	v_add3_u32 v226, v35, v226, v229                           // 00000000ABFC: D1FF00E2 0797C523
	v_cndmask_b32_e64 v33, v226, v228, s[74:75]                // 00000000AC04: D1000021 012BC9E2
	v_and_or_b32 v62, v33, v227, v32                           // 00000000AC0C: D201003E 0483C721
	v_accvgpr_read_b32 v34, a134                               // 00000000AC14: D3D84022 18000186
	v_accvgpr_read_b32 v35, a135                               // 00000000AC1C: D3D84023 18000187
	v_mul_f32_e32 v34, s47, v34                                // 00000000AC24: 0A44442F
	v_mul_f32_e32 v35, s47, v35                                // 00000000AC28: 0A46462F
	v_cmp_u_f32_e64 s[74:75], v34, v34                         // 00000000AC2C: D048004A 00024522
	v_bfe_u32 v226, v34, 16, 1                                 // 00000000AC34: D1C800E2 02052122
	v_add3_u32 v226, v34, v226, v229                           // 00000000AC3C: D1FF00E2 0797C522
	v_cndmask_b32_e64 v32, v226, v228, s[74:75]                // 00000000AC44: D1000020 012BC9E2
	v_lshrrev_b32_e32 v32, 16, v32                             // 00000000AC4C: 20404090
	v_cmp_u_f32_e64 s[74:75], v35, v35                         // 00000000AC50: D048004A 00024723
	v_bfe_u32 v226, v35, 16, 1                                 // 00000000AC58: D1C800E2 02052123
	v_add3_u32 v226, v35, v226, v229                           // 00000000AC60: D1FF00E2 0797C523
	v_cndmask_b32_e64 v33, v226, v228, s[74:75]                // 00000000AC68: D1000021 012BC9E2
	v_and_or_b32 v63, v33, v227, v32                           // 00000000AC70: D201003F 0483C721
	v_accvgpr_read_b32 v34, a136                               // 00000000AC78: D3D84022 18000188
	v_accvgpr_read_b32 v35, a137                               // 00000000AC80: D3D84023 18000189
	v_mul_f32_e32 v34, s47, v34                                // 00000000AC88: 0A44442F
	v_mul_f32_e32 v35, s47, v35                                // 00000000AC8C: 0A46462F
	v_cmp_u_f32_e64 s[74:75], v34, v34                         // 00000000AC90: D048004A 00024522
	v_bfe_u32 v226, v34, 16, 1                                 // 00000000AC98: D1C800E2 02052122
	v_add3_u32 v226, v34, v226, v229                           // 00000000ACA0: D1FF00E2 0797C522
	v_cndmask_b32_e64 v32, v226, v228, s[74:75]                // 00000000ACA8: D1000020 012BC9E2
	v_lshrrev_b32_e32 v32, 16, v32                             // 00000000ACB0: 20404090
	v_cmp_u_f32_e64 s[74:75], v35, v35                         // 00000000ACB4: D048004A 00024723
	v_bfe_u32 v226, v35, 16, 1                                 // 00000000ACBC: D1C800E2 02052123
	v_add3_u32 v226, v35, v226, v229                           // 00000000ACC4: D1FF00E2 0797C523
	v_cndmask_b32_e64 v33, v226, v228, s[74:75]                // 00000000ACCC: D1000021 012BC9E2
	v_and_or_b32 v64, v33, v227, v32                           // 00000000ACD4: D2010040 0483C721
	v_accvgpr_read_b32 v34, a138                               // 00000000ACDC: D3D84022 1800018A
	v_accvgpr_read_b32 v35, a139                               // 00000000ACE4: D3D84023 1800018B
	v_mul_f32_e32 v34, s47, v34                                // 00000000ACEC: 0A44442F
	v_mul_f32_e32 v35, s47, v35                                // 00000000ACF0: 0A46462F
	v_cmp_u_f32_e64 s[74:75], v34, v34                         // 00000000ACF4: D048004A 00024522
	v_bfe_u32 v226, v34, 16, 1                                 // 00000000ACFC: D1C800E2 02052122
	v_add3_u32 v226, v34, v226, v229                           // 00000000AD04: D1FF00E2 0797C522
	v_cndmask_b32_e64 v32, v226, v228, s[74:75]                // 00000000AD0C: D1000020 012BC9E2
	v_lshrrev_b32_e32 v32, 16, v32                             // 00000000AD14: 20404090
	v_cmp_u_f32_e64 s[74:75], v35, v35                         // 00000000AD18: D048004A 00024723
	v_bfe_u32 v226, v35, 16, 1                                 // 00000000AD20: D1C800E2 02052123
	v_add3_u32 v226, v35, v226, v229                           // 00000000AD28: D1FF00E2 0797C523
	v_cndmask_b32_e64 v33, v226, v228, s[74:75]                // 00000000AD30: D1000021 012BC9E2
	v_and_or_b32 v65, v33, v227, v32                           // 00000000AD38: D2010041 0483C721
	v_accvgpr_read_b32 v34, a140                               // 00000000AD40: D3D84022 1800018C
	v_accvgpr_read_b32 v35, a141                               // 00000000AD48: D3D84023 1800018D
	v_mul_f32_e32 v34, s47, v34                                // 00000000AD50: 0A44442F
	v_mul_f32_e32 v35, s47, v35                                // 00000000AD54: 0A46462F
	v_cmp_u_f32_e64 s[74:75], v34, v34                         // 00000000AD58: D048004A 00024522
	v_bfe_u32 v226, v34, 16, 1                                 // 00000000AD60: D1C800E2 02052122
	v_add3_u32 v226, v34, v226, v229                           // 00000000AD68: D1FF00E2 0797C522
	v_cndmask_b32_e64 v32, v226, v228, s[74:75]                // 00000000AD70: D1000020 012BC9E2
	v_lshrrev_b32_e32 v32, 16, v32                             // 00000000AD78: 20404090
	v_cmp_u_f32_e64 s[74:75], v35, v35                         // 00000000AD7C: D048004A 00024723
	v_bfe_u32 v226, v35, 16, 1                                 // 00000000AD84: D1C800E2 02052123
	v_add3_u32 v226, v35, v226, v229                           // 00000000AD8C: D1FF00E2 0797C523
	v_cndmask_b32_e64 v33, v226, v228, s[74:75]                // 00000000AD94: D1000021 012BC9E2
	v_and_or_b32 v66, v33, v227, v32                           // 00000000AD9C: D2010042 0483C721
	v_accvgpr_read_b32 v34, a142                               // 00000000ADA4: D3D84022 1800018E
	v_accvgpr_read_b32 v35, a143                               // 00000000ADAC: D3D84023 1800018F
	v_mul_f32_e32 v34, s47, v34                                // 00000000ADB4: 0A44442F
	v_mul_f32_e32 v35, s47, v35                                // 00000000ADB8: 0A46462F
	v_cmp_u_f32_e64 s[74:75], v34, v34                         // 00000000ADBC: D048004A 00024522
	v_bfe_u32 v226, v34, 16, 1                                 // 00000000ADC4: D1C800E2 02052122
	v_add3_u32 v226, v34, v226, v229                           // 00000000ADCC: D1FF00E2 0797C522
	v_cndmask_b32_e64 v32, v226, v228, s[74:75]                // 00000000ADD4: D1000020 012BC9E2
	v_lshrrev_b32_e32 v32, 16, v32                             // 00000000ADDC: 20404090
	v_cmp_u_f32_e64 s[74:75], v35, v35                         // 00000000ADE0: D048004A 00024723
	v_bfe_u32 v226, v35, 16, 1                                 // 00000000ADE8: D1C800E2 02052123
	v_add3_u32 v226, v35, v226, v229                           // 00000000ADF0: D1FF00E2 0797C523
	v_cndmask_b32_e64 v33, v226, v228, s[74:75]                // 00000000ADF8: D1000021 012BC9E2
	v_and_or_b32 v67, v33, v227, v32                           // 00000000AE00: D2010043 0483C721
	ds_write_b64 v27, v[60:61] offset:8704                     // 00000000AE08: D89A2200 00003C1B
	ds_write_b64 v27, v[62:63] offset:9248                     // 00000000AE10: D89A2420 00003E1B
	ds_write_b64 v27, v[64:65] offset:9792                     // 00000000AE18: D89A2640 0000401B
	ds_write_b64 v27, v[66:67] offset:10336                    // 00000000AE20: D89A2860 0000421B
	s_waitcnt lgkmcnt(0)                                       // 00000000AE28: BF8CC07F
	s_barrier                                                  // 00000000AE2C: BF8A0000
	ds_read_b64 v[60:61], v26 offset:8704                      // 00000000AE30: D8EC2200 3C00001A
	ds_read_b64 v[62:63], v26 offset:8832                      // 00000000AE38: D8EC2280 3E00001A
	ds_read_b64 v[64:65], v26 offset:8768                      // 00000000AE40: D8EC2240 4000001A
	ds_read_b64 v[66:67], v26 offset:8896                      // 00000000AE48: D8EC22C0 4200001A
	s_waitcnt lgkmcnt(0)                                       // 00000000AE50: BF8CC07F
	s_mov_b32 s70, s52                                         // 00000000AE54: BEC60034
	buffer_store_dwordx4 v[60:63], v5, s[36:39], 0 idxen       // 00000000AE58: E07C2000 80093C05
	s_mul_i32 s60, 2, s70                                      // 00000000AE60: 923C4682
	v_add_u32_e32 v5, s60, v5                                  // 00000000AE64: 680A0A3C
	buffer_store_dwordx4 v[64:67], v5, s[36:39], 0 idxen       // 00000000AE68: E07C2000 80094005
	s_mul_i32 s60, 2, s70                                      // 00000000AE70: 923C4682
	v_add_u32_e32 v5, s60, v5                                  // 00000000AE74: 680A0A3C
	s_mul_i32 s60, 12, s70                                     // 00000000AE78: 923C468C
	v_add_u32_e32 v5, s60, v5                                  // 00000000AE7C: 680A0A3C
	s_barrier                                                  // 00000000AE80: BF8A0000
	s_cmp_ge_i32 2, s73                                        // 00000000AE84: BF034982
	s_cbranch_scc1 label_1CB0                                  // 00000000AE88: BF8500E9
	v_accvgpr_read_b32 v34, a144                               // 00000000AE8C: D3D84022 18000190
	v_accvgpr_read_b32 v35, a145                               // 00000000AE94: D3D84023 18000191
	v_mul_f32_e32 v34, s47, v34                                // 00000000AE9C: 0A44442F
	v_mul_f32_e32 v35, s47, v35                                // 00000000AEA0: 0A46462F
	v_cmp_u_f32_e64 s[74:75], v34, v34                         // 00000000AEA4: D048004A 00024522
	v_bfe_u32 v226, v34, 16, 1                                 // 00000000AEAC: D1C800E2 02052122
	v_add3_u32 v226, v34, v226, v229                           // 00000000AEB4: D1FF00E2 0797C522
	v_cndmask_b32_e64 v32, v226, v228, s[74:75]                // 00000000AEBC: D1000020 012BC9E2
	v_lshrrev_b32_e32 v32, 16, v32                             // 00000000AEC4: 20404090
	v_cmp_u_f32_e64 s[74:75], v35, v35                         // 00000000AEC8: D048004A 00024723
	v_bfe_u32 v226, v35, 16, 1                                 // 00000000AED0: D1C800E2 02052123
	v_add3_u32 v226, v35, v226, v229                           // 00000000AED8: D1FF00E2 0797C523
	v_cndmask_b32_e64 v33, v226, v228, s[74:75]                // 00000000AEE0: D1000021 012BC9E2
	v_and_or_b32 v68, v33, v227, v32                           // 00000000AEE8: D2010044 0483C721
	v_accvgpr_read_b32 v34, a146                               // 00000000AEF0: D3D84022 18000192
	v_accvgpr_read_b32 v35, a147                               // 00000000AEF8: D3D84023 18000193
	v_mul_f32_e32 v34, s47, v34                                // 00000000AF00: 0A44442F
	v_mul_f32_e32 v35, s47, v35                                // 00000000AF04: 0A46462F
	v_cmp_u_f32_e64 s[74:75], v34, v34                         // 00000000AF08: D048004A 00024522
	v_bfe_u32 v226, v34, 16, 1                                 // 00000000AF10: D1C800E2 02052122
	v_add3_u32 v226, v34, v226, v229                           // 00000000AF18: D1FF00E2 0797C522
	v_cndmask_b32_e64 v32, v226, v228, s[74:75]                // 00000000AF20: D1000020 012BC9E2
	v_lshrrev_b32_e32 v32, 16, v32                             // 00000000AF28: 20404090
	v_cmp_u_f32_e64 s[74:75], v35, v35                         // 00000000AF2C: D048004A 00024723
	v_bfe_u32 v226, v35, 16, 1                                 // 00000000AF34: D1C800E2 02052123
	v_add3_u32 v226, v35, v226, v229                           // 00000000AF3C: D1FF00E2 0797C523
	v_cndmask_b32_e64 v33, v226, v228, s[74:75]                // 00000000AF44: D1000021 012BC9E2
	v_and_or_b32 v69, v33, v227, v32                           // 00000000AF4C: D2010045 0483C721
	v_accvgpr_read_b32 v34, a148                               // 00000000AF54: D3D84022 18000194
	v_accvgpr_read_b32 v35, a149                               // 00000000AF5C: D3D84023 18000195
	v_mul_f32_e32 v34, s47, v34                                // 00000000AF64: 0A44442F
	v_mul_f32_e32 v35, s47, v35                                // 00000000AF68: 0A46462F
	v_cmp_u_f32_e64 s[74:75], v34, v34                         // 00000000AF6C: D048004A 00024522
	v_bfe_u32 v226, v34, 16, 1                                 // 00000000AF74: D1C800E2 02052122
	v_add3_u32 v226, v34, v226, v229                           // 00000000AF7C: D1FF00E2 0797C522
	v_cndmask_b32_e64 v32, v226, v228, s[74:75]                // 00000000AF84: D1000020 012BC9E2
	v_lshrrev_b32_e32 v32, 16, v32                             // 00000000AF8C: 20404090
	v_cmp_u_f32_e64 s[74:75], v35, v35                         // 00000000AF90: D048004A 00024723
	v_bfe_u32 v226, v35, 16, 1                                 // 00000000AF98: D1C800E2 02052123
	v_add3_u32 v226, v35, v226, v229                           // 00000000AFA0: D1FF00E2 0797C523
	v_cndmask_b32_e64 v33, v226, v228, s[74:75]                // 00000000AFA8: D1000021 012BC9E2
	v_and_or_b32 v70, v33, v227, v32                           // 00000000AFB0: D2010046 0483C721
	v_accvgpr_read_b32 v34, a150                               // 00000000AFB8: D3D84022 18000196
	v_accvgpr_read_b32 v35, a151                               // 00000000AFC0: D3D84023 18000197
	v_mul_f32_e32 v34, s47, v34                                // 00000000AFC8: 0A44442F
	v_mul_f32_e32 v35, s47, v35                                // 00000000AFCC: 0A46462F
	v_cmp_u_f32_e64 s[74:75], v34, v34                         // 00000000AFD0: D048004A 00024522
	v_bfe_u32 v226, v34, 16, 1                                 // 00000000AFD8: D1C800E2 02052122
	v_add3_u32 v226, v34, v226, v229                           // 00000000AFE0: D1FF00E2 0797C522
	v_cndmask_b32_e64 v32, v226, v228, s[74:75]                // 00000000AFE8: D1000020 012BC9E2
	v_lshrrev_b32_e32 v32, 16, v32                             // 00000000AFF0: 20404090
	v_cmp_u_f32_e64 s[74:75], v35, v35                         // 00000000AFF4: D048004A 00024723
	v_bfe_u32 v226, v35, 16, 1                                 // 00000000AFFC: D1C800E2 02052123
	v_add3_u32 v226, v35, v226, v229                           // 00000000B004: D1FF00E2 0797C523
	v_cndmask_b32_e64 v33, v226, v228, s[74:75]                // 00000000B00C: D1000021 012BC9E2
	v_and_or_b32 v71, v33, v227, v32                           // 00000000B014: D2010047 0483C721
	v_accvgpr_read_b32 v34, a152                               // 00000000B01C: D3D84022 18000198
	v_accvgpr_read_b32 v35, a153                               // 00000000B024: D3D84023 18000199
	v_mul_f32_e32 v34, s47, v34                                // 00000000B02C: 0A44442F
	v_mul_f32_e32 v35, s47, v35                                // 00000000B030: 0A46462F
	v_cmp_u_f32_e64 s[74:75], v34, v34                         // 00000000B034: D048004A 00024522
	v_bfe_u32 v226, v34, 16, 1                                 // 00000000B03C: D1C800E2 02052122
	v_add3_u32 v226, v34, v226, v229                           // 00000000B044: D1FF00E2 0797C522
	v_cndmask_b32_e64 v32, v226, v228, s[74:75]                // 00000000B04C: D1000020 012BC9E2
	v_lshrrev_b32_e32 v32, 16, v32                             // 00000000B054: 20404090
	v_cmp_u_f32_e64 s[74:75], v35, v35                         // 00000000B058: D048004A 00024723
	v_bfe_u32 v226, v35, 16, 1                                 // 00000000B060: D1C800E2 02052123
	v_add3_u32 v226, v35, v226, v229                           // 00000000B068: D1FF00E2 0797C523
	v_cndmask_b32_e64 v33, v226, v228, s[74:75]                // 00000000B070: D1000021 012BC9E2
	v_and_or_b32 v72, v33, v227, v32                           // 00000000B078: D2010048 0483C721
	v_accvgpr_read_b32 v34, a154                               // 00000000B080: D3D84022 1800019A
	v_accvgpr_read_b32 v35, a155                               // 00000000B088: D3D84023 1800019B
	v_mul_f32_e32 v34, s47, v34                                // 00000000B090: 0A44442F
	v_mul_f32_e32 v35, s47, v35                                // 00000000B094: 0A46462F
	v_cmp_u_f32_e64 s[74:75], v34, v34                         // 00000000B098: D048004A 00024522
	v_bfe_u32 v226, v34, 16, 1                                 // 00000000B0A0: D1C800E2 02052122
	v_add3_u32 v226, v34, v226, v229                           // 00000000B0A8: D1FF00E2 0797C522
	v_cndmask_b32_e64 v32, v226, v228, s[74:75]                // 00000000B0B0: D1000020 012BC9E2
	v_lshrrev_b32_e32 v32, 16, v32                             // 00000000B0B8: 20404090
	v_cmp_u_f32_e64 s[74:75], v35, v35                         // 00000000B0BC: D048004A 00024723
	v_bfe_u32 v226, v35, 16, 1                                 // 00000000B0C4: D1C800E2 02052123
	v_add3_u32 v226, v35, v226, v229                           // 00000000B0CC: D1FF00E2 0797C523
	v_cndmask_b32_e64 v33, v226, v228, s[74:75]                // 00000000B0D4: D1000021 012BC9E2
	v_and_or_b32 v73, v33, v227, v32                           // 00000000B0DC: D2010049 0483C721
	v_accvgpr_read_b32 v34, a156                               // 00000000B0E4: D3D84022 1800019C
	v_accvgpr_read_b32 v35, a157                               // 00000000B0EC: D3D84023 1800019D
	v_mul_f32_e32 v34, s47, v34                                // 00000000B0F4: 0A44442F
	v_mul_f32_e32 v35, s47, v35                                // 00000000B0F8: 0A46462F
	v_cmp_u_f32_e64 s[74:75], v34, v34                         // 00000000B0FC: D048004A 00024522
	v_bfe_u32 v226, v34, 16, 1                                 // 00000000B104: D1C800E2 02052122
	v_add3_u32 v226, v34, v226, v229                           // 00000000B10C: D1FF00E2 0797C522
	v_cndmask_b32_e64 v32, v226, v228, s[74:75]                // 00000000B114: D1000020 012BC9E2
	v_lshrrev_b32_e32 v32, 16, v32                             // 00000000B11C: 20404090
	v_cmp_u_f32_e64 s[74:75], v35, v35                         // 00000000B120: D048004A 00024723
	v_bfe_u32 v226, v35, 16, 1                                 // 00000000B128: D1C800E2 02052123
	v_add3_u32 v226, v35, v226, v229                           // 00000000B130: D1FF00E2 0797C523
	v_cndmask_b32_e64 v33, v226, v228, s[74:75]                // 00000000B138: D1000021 012BC9E2
	v_and_or_b32 v74, v33, v227, v32                           // 00000000B140: D201004A 0483C721
	v_accvgpr_read_b32 v34, a158                               // 00000000B148: D3D84022 1800019E
	v_accvgpr_read_b32 v35, a159                               // 00000000B150: D3D84023 1800019F
	v_mul_f32_e32 v34, s47, v34                                // 00000000B158: 0A44442F
	v_mul_f32_e32 v35, s47, v35                                // 00000000B15C: 0A46462F
	v_cmp_u_f32_e64 s[74:75], v34, v34                         // 00000000B160: D048004A 00024522
	v_bfe_u32 v226, v34, 16, 1                                 // 00000000B168: D1C800E2 02052122
	v_add3_u32 v226, v34, v226, v229                           // 00000000B170: D1FF00E2 0797C522
	v_cndmask_b32_e64 v32, v226, v228, s[74:75]                // 00000000B178: D1000020 012BC9E2
	v_lshrrev_b32_e32 v32, 16, v32                             // 00000000B180: 20404090
	v_cmp_u_f32_e64 s[74:75], v35, v35                         // 00000000B184: D048004A 00024723
	v_bfe_u32 v226, v35, 16, 1                                 // 00000000B18C: D1C800E2 02052123
	v_add3_u32 v226, v35, v226, v229                           // 00000000B194: D1FF00E2 0797C523
	v_cndmask_b32_e64 v33, v226, v228, s[74:75]                // 00000000B19C: D1000021 012BC9E2
	v_and_or_b32 v75, v33, v227, v32                           // 00000000B1A4: D201004B 0483C721
	ds_write_b64 v27, v[68:69] offset:17408                    // 00000000B1AC: D89A4400 0000441B
	ds_write_b64 v27, v[70:71] offset:17952                    // 00000000B1B4: D89A4620 0000461B
	ds_write_b64 v27, v[72:73] offset:18496                    // 00000000B1BC: D89A4840 0000481B
	ds_write_b64 v27, v[74:75] offset:19040                    // 00000000B1C4: D89A4A60 00004A1B
	s_waitcnt lgkmcnt(0)                                       // 00000000B1CC: BF8CC07F
	s_barrier                                                  // 00000000B1D0: BF8A0000
	ds_read_b64 v[68:69], v26 offset:17408                     // 00000000B1D4: D8EC4400 4400001A
	ds_read_b64 v[70:71], v26 offset:17536                     // 00000000B1DC: D8EC4480 4600001A
	ds_read_b64 v[72:73], v26 offset:17472                     // 00000000B1E4: D8EC4440 4800001A
	ds_read_b64 v[74:75], v26 offset:17600                     // 00000000B1EC: D8EC44C0 4A00001A
	s_waitcnt lgkmcnt(0)                                       // 00000000B1F4: BF8CC07F
	s_mov_b32 s70, s52                                         // 00000000B1F8: BEC60034
	buffer_store_dwordx4 v[68:71], v5, s[36:39], 0 idxen       // 00000000B1FC: E07C2000 80094405
	s_mul_i32 s60, 2, s70                                      // 00000000B204: 923C4682
	v_add_u32_e32 v5, s60, v5                                  // 00000000B208: 680A0A3C
	buffer_store_dwordx4 v[72:75], v5, s[36:39], 0 idxen       // 00000000B20C: E07C2000 80094805
	s_mul_i32 s60, 2, s70                                      // 00000000B214: 923C4682
	v_add_u32_e32 v5, s60, v5                                  // 00000000B218: 680A0A3C
	s_mul_i32 s60, 12, s70                                     // 00000000B21C: 923C468C
	v_add_u32_e32 v5, s60, v5                                  // 00000000B220: 680A0A3C
	s_barrier                                                  // 00000000B224: BF8A0000
	s_cmp_ge_i32 3, s73                                        // 00000000B228: BF034983
	s_cbranch_scc1 label_1CB0                                  // 00000000B22C: BF850000

000000000000b230 <label_1CB0>:
	v_mov_b32_e32 v34, v178                                    // 00000000B230: 7E4403B2
	v_mov_b32_e32 v35, v179                                    // 00000000B234: 7E4603B3
	v_cmp_u_f32_e64 s[74:75], v34, v34                         // 00000000B238: D048004A 00024522
	v_bfe_u32 v226, v34, 16, 1                                 // 00000000B240: D1C800E2 02052122
	v_add3_u32 v226, v34, v226, v229                           // 00000000B248: D1FF00E2 0797C522
	v_cndmask_b32_e64 v32, v226, v228, s[74:75]                // 00000000B250: D1000020 012BC9E2
	v_lshrrev_b32_e32 v32, 16, v32                             // 00000000B258: 20404090
	v_cmp_u_f32_e64 s[74:75], v35, v35                         // 00000000B25C: D048004A 00024723
	v_bfe_u32 v226, v35, 16, 1                                 // 00000000B264: D1C800E2 02052123
	v_add3_u32 v226, v35, v226, v229                           // 00000000B26C: D1FF00E2 0797C523
	v_cndmask_b32_e64 v33, v226, v228, s[74:75]                // 00000000B274: D1000021 012BC9E2
	v_and_or_b32 v178, v33, v227, v32                          // 00000000B27C: D20100B2 0483C721
	v_mov_b32_e32 v34, v180                                    // 00000000B284: 7E4403B4
	v_mov_b32_e32 v35, v181                                    // 00000000B288: 7E4603B5
	v_cmp_u_f32_e64 s[74:75], v34, v34                         // 00000000B28C: D048004A 00024522
	v_bfe_u32 v226, v34, 16, 1                                 // 00000000B294: D1C800E2 02052122
	v_add3_u32 v226, v34, v226, v229                           // 00000000B29C: D1FF00E2 0797C522
	v_cndmask_b32_e64 v32, v226, v228, s[74:75]                // 00000000B2A4: D1000020 012BC9E2
	v_lshrrev_b32_e32 v32, 16, v32                             // 00000000B2AC: 20404090
	v_cmp_u_f32_e64 s[74:75], v35, v35                         // 00000000B2B0: D048004A 00024723
	v_bfe_u32 v226, v35, 16, 1                                 // 00000000B2B8: D1C800E2 02052123
	v_add3_u32 v226, v35, v226, v229                           // 00000000B2C0: D1FF00E2 0797C523
	v_cndmask_b32_e64 v33, v226, v228, s[74:75]                // 00000000B2C8: D1000021 012BC9E2
	v_and_or_b32 v179, v33, v227, v32                          // 00000000B2D0: D20100B3 0483C721
	v_mov_b32_e32 v34, v182                                    // 00000000B2D8: 7E4403B6
	v_mov_b32_e32 v35, v183                                    // 00000000B2DC: 7E4603B7
	v_cmp_u_f32_e64 s[74:75], v34, v34                         // 00000000B2E0: D048004A 00024522
	v_bfe_u32 v226, v34, 16, 1                                 // 00000000B2E8: D1C800E2 02052122
	v_add3_u32 v226, v34, v226, v229                           // 00000000B2F0: D1FF00E2 0797C522
	v_cndmask_b32_e64 v32, v226, v228, s[74:75]                // 00000000B2F8: D1000020 012BC9E2
	v_lshrrev_b32_e32 v32, 16, v32                             // 00000000B300: 20404090
	v_cmp_u_f32_e64 s[74:75], v35, v35                         // 00000000B304: D048004A 00024723
	v_bfe_u32 v226, v35, 16, 1                                 // 00000000B30C: D1C800E2 02052123
	v_add3_u32 v226, v35, v226, v229                           // 00000000B314: D1FF00E2 0797C523
	v_cndmask_b32_e64 v33, v226, v228, s[74:75]                // 00000000B31C: D1000021 012BC9E2
	v_and_or_b32 v180, v33, v227, v32                          // 00000000B324: D20100B4 0483C721
	v_mov_b32_e32 v34, v184                                    // 00000000B32C: 7E4403B8
	v_mov_b32_e32 v35, v185                                    // 00000000B330: 7E4603B9
	v_cmp_u_f32_e64 s[74:75], v34, v34                         // 00000000B334: D048004A 00024522
	v_bfe_u32 v226, v34, 16, 1                                 // 00000000B33C: D1C800E2 02052122
	v_add3_u32 v226, v34, v226, v229                           // 00000000B344: D1FF00E2 0797C522
	v_cndmask_b32_e64 v32, v226, v228, s[74:75]                // 00000000B34C: D1000020 012BC9E2
	v_lshrrev_b32_e32 v32, 16, v32                             // 00000000B354: 20404090
	v_cmp_u_f32_e64 s[74:75], v35, v35                         // 00000000B358: D048004A 00024723
	v_bfe_u32 v226, v35, 16, 1                                 // 00000000B360: D1C800E2 02052123
	v_add3_u32 v226, v35, v226, v229                           // 00000000B368: D1FF00E2 0797C523
	v_cndmask_b32_e64 v33, v226, v228, s[74:75]                // 00000000B370: D1000021 012BC9E2
	v_and_or_b32 v181, v33, v227, v32                          // 00000000B378: D20100B5 0483C721
	v_mov_b32_e32 v34, v186                                    // 00000000B380: 7E4403BA
	v_mov_b32_e32 v35, v187                                    // 00000000B384: 7E4603BB
	v_cmp_u_f32_e64 s[74:75], v34, v34                         // 00000000B388: D048004A 00024522
	v_bfe_u32 v226, v34, 16, 1                                 // 00000000B390: D1C800E2 02052122
	v_add3_u32 v226, v34, v226, v229                           // 00000000B398: D1FF00E2 0797C522
	v_cndmask_b32_e64 v32, v226, v228, s[74:75]                // 00000000B3A0: D1000020 012BC9E2
	v_lshrrev_b32_e32 v32, 16, v32                             // 00000000B3A8: 20404090
	v_cmp_u_f32_e64 s[74:75], v35, v35                         // 00000000B3AC: D048004A 00024723
	v_bfe_u32 v226, v35, 16, 1                                 // 00000000B3B4: D1C800E2 02052123
	v_add3_u32 v226, v35, v226, v229                           // 00000000B3BC: D1FF00E2 0797C523
	v_cndmask_b32_e64 v33, v226, v228, s[74:75]                // 00000000B3C4: D1000021 012BC9E2
	v_and_or_b32 v182, v33, v227, v32                          // 00000000B3CC: D20100B6 0483C721
	v_mov_b32_e32 v34, v188                                    // 00000000B3D4: 7E4403BC
	v_mov_b32_e32 v35, v189                                    // 00000000B3D8: 7E4603BD
	v_cmp_u_f32_e64 s[74:75], v34, v34                         // 00000000B3DC: D048004A 00024522
	v_bfe_u32 v226, v34, 16, 1                                 // 00000000B3E4: D1C800E2 02052122
	v_add3_u32 v226, v34, v226, v229                           // 00000000B3EC: D1FF00E2 0797C522
	v_cndmask_b32_e64 v32, v226, v228, s[74:75]                // 00000000B3F4: D1000020 012BC9E2
	v_lshrrev_b32_e32 v32, 16, v32                             // 00000000B3FC: 20404090
	v_cmp_u_f32_e64 s[74:75], v35, v35                         // 00000000B400: D048004A 00024723
	v_bfe_u32 v226, v35, 16, 1                                 // 00000000B408: D1C800E2 02052123
	v_add3_u32 v226, v35, v226, v229                           // 00000000B410: D1FF00E2 0797C523
	v_cndmask_b32_e64 v33, v226, v228, s[74:75]                // 00000000B418: D1000021 012BC9E2
	v_and_or_b32 v183, v33, v227, v32                          // 00000000B420: D20100B7 0483C721
	v_mov_b32_e32 v34, v190                                    // 00000000B428: 7E4403BE
	v_mov_b32_e32 v35, v191                                    // 00000000B42C: 7E4603BF
	v_cmp_u_f32_e64 s[74:75], v34, v34                         // 00000000B430: D048004A 00024522
	v_bfe_u32 v226, v34, 16, 1                                 // 00000000B438: D1C800E2 02052122
	v_add3_u32 v226, v34, v226, v229                           // 00000000B440: D1FF00E2 0797C522
	v_cndmask_b32_e64 v32, v226, v228, s[74:75]                // 00000000B448: D1000020 012BC9E2
	v_lshrrev_b32_e32 v32, 16, v32                             // 00000000B450: 20404090
	v_cmp_u_f32_e64 s[74:75], v35, v35                         // 00000000B454: D048004A 00024723
	v_bfe_u32 v226, v35, 16, 1                                 // 00000000B45C: D1C800E2 02052123
	v_add3_u32 v226, v35, v226, v229                           // 00000000B464: D1FF00E2 0797C523
	v_cndmask_b32_e64 v33, v226, v228, s[74:75]                // 00000000B46C: D1000021 012BC9E2
	v_and_or_b32 v184, v33, v227, v32                          // 00000000B474: D20100B8 0483C721
	v_mov_b32_e32 v34, v192                                    // 00000000B47C: 7E4403C0
	v_mov_b32_e32 v35, v193                                    // 00000000B480: 7E4603C1
	v_cmp_u_f32_e64 s[74:75], v34, v34                         // 00000000B484: D048004A 00024522
	v_bfe_u32 v226, v34, 16, 1                                 // 00000000B48C: D1C800E2 02052122
	v_add3_u32 v226, v34, v226, v229                           // 00000000B494: D1FF00E2 0797C522
	v_cndmask_b32_e64 v32, v226, v228, s[74:75]                // 00000000B49C: D1000020 012BC9E2
	v_lshrrev_b32_e32 v32, 16, v32                             // 00000000B4A4: 20404090
	v_cmp_u_f32_e64 s[74:75], v35, v35                         // 00000000B4A8: D048004A 00024723
	v_bfe_u32 v226, v35, 16, 1                                 // 00000000B4B0: D1C800E2 02052123
	v_add3_u32 v226, v35, v226, v229                           // 00000000B4B8: D1FF00E2 0797C523
	v_cndmask_b32_e64 v33, v226, v228, s[74:75]                // 00000000B4C0: D1000021 012BC9E2
	v_and_or_b32 v185, v33, v227, v32                          // 00000000B4C8: D20100B9 0483C721
	ds_write_b64 v27, v[178:179]                               // 00000000B4D0: D89A0000 0000B21B
	ds_write_b64 v27, v[180:181] offset:544                    // 00000000B4D8: D89A0220 0000B41B
	ds_write_b64 v27, v[182:183] offset:1088                   // 00000000B4E0: D89A0440 0000B61B
	ds_write_b64 v27, v[184:185] offset:1632                   // 00000000B4E8: D89A0660 0000B81B
	s_waitcnt lgkmcnt(0)                                       // 00000000B4F0: BF8CC07F
	s_barrier                                                  // 00000000B4F4: BF8A0000
	ds_read_b64 v[178:179], v26                                // 00000000B4F8: D8EC0000 B200001A
	ds_read_b64 v[180:181], v26 offset:128                     // 00000000B500: D8EC0080 B400001A
	ds_read_b64 v[182:183], v26 offset:64                      // 00000000B508: D8EC0040 B600001A
	ds_read_b64 v[184:185], v26 offset:192                     // 00000000B510: D8EC00C0 B800001A
	s_waitcnt lgkmcnt(0)                                       // 00000000B518: BF8CC07F
	s_mov_b32 s70, s53                                         // 00000000B51C: BEC60035
	buffer_store_dwordx4 v[178:181], v10, s[40:43], 0 idxen    // 00000000B520: E07C2000 800AB20A
	s_mul_i32 s60, 2, s70                                      // 00000000B528: 923C4682
	v_add_u32_e32 v10, s60, v10                                // 00000000B52C: 6814143C
	buffer_store_dwordx4 v[182:185], v10, s[40:43], 0 idxen    // 00000000B530: E07C2000 800AB60A
	s_mul_i32 s60, 2, s70                                      // 00000000B538: 923C4682
	v_add_u32_e32 v10, s60, v10                                // 00000000B53C: 6814143C
	s_mul_i32 s60, 12, s70                                     // 00000000B540: 923C468C
	v_add_u32_e32 v10, s60, v10                                // 00000000B544: 6814143C
	s_cmp_ge_i32 1, s73                                        // 00000000B548: BF034981
	s_cbranch_scc1 label_1F08                                  // 00000000B54C: BF850190
	v_mov_b32_e32 v34, v194                                    // 00000000B550: 7E4403C2
	v_mov_b32_e32 v35, v195                                    // 00000000B554: 7E4603C3
	v_cmp_u_f32_e64 s[74:75], v34, v34                         // 00000000B558: D048004A 00024522
	v_bfe_u32 v226, v34, 16, 1                                 // 00000000B560: D1C800E2 02052122
	v_add3_u32 v226, v34, v226, v229                           // 00000000B568: D1FF00E2 0797C522
	v_cndmask_b32_e64 v32, v226, v228, s[74:75]                // 00000000B570: D1000020 012BC9E2
	v_lshrrev_b32_e32 v32, 16, v32                             // 00000000B578: 20404090
	v_cmp_u_f32_e64 s[74:75], v35, v35                         // 00000000B57C: D048004A 00024723
	v_bfe_u32 v226, v35, 16, 1                                 // 00000000B584: D1C800E2 02052123
	v_add3_u32 v226, v35, v226, v229                           // 00000000B58C: D1FF00E2 0797C523
	v_cndmask_b32_e64 v33, v226, v228, s[74:75]                // 00000000B594: D1000021 012BC9E2
	v_and_or_b32 v186, v33, v227, v32                          // 00000000B59C: D20100BA 0483C721
	v_mov_b32_e32 v34, v196                                    // 00000000B5A4: 7E4403C4
	v_mov_b32_e32 v35, v197                                    // 00000000B5A8: 7E4603C5
	v_cmp_u_f32_e64 s[74:75], v34, v34                         // 00000000B5AC: D048004A 00024522
	v_bfe_u32 v226, v34, 16, 1                                 // 00000000B5B4: D1C800E2 02052122
	v_add3_u32 v226, v34, v226, v229                           // 00000000B5BC: D1FF00E2 0797C522
	v_cndmask_b32_e64 v32, v226, v228, s[74:75]                // 00000000B5C4: D1000020 012BC9E2
	v_lshrrev_b32_e32 v32, 16, v32                             // 00000000B5CC: 20404090
	v_cmp_u_f32_e64 s[74:75], v35, v35                         // 00000000B5D0: D048004A 00024723
	v_bfe_u32 v226, v35, 16, 1                                 // 00000000B5D8: D1C800E2 02052123
	v_add3_u32 v226, v35, v226, v229                           // 00000000B5E0: D1FF00E2 0797C523
	v_cndmask_b32_e64 v33, v226, v228, s[74:75]                // 00000000B5E8: D1000021 012BC9E2
	v_and_or_b32 v187, v33, v227, v32                          // 00000000B5F0: D20100BB 0483C721
	v_mov_b32_e32 v34, v198                                    // 00000000B5F8: 7E4403C6
	v_mov_b32_e32 v35, v199                                    // 00000000B5FC: 7E4603C7
	v_cmp_u_f32_e64 s[74:75], v34, v34                         // 00000000B600: D048004A 00024522
	v_bfe_u32 v226, v34, 16, 1                                 // 00000000B608: D1C800E2 02052122
	v_add3_u32 v226, v34, v226, v229                           // 00000000B610: D1FF00E2 0797C522
	v_cndmask_b32_e64 v32, v226, v228, s[74:75]                // 00000000B618: D1000020 012BC9E2
	v_lshrrev_b32_e32 v32, 16, v32                             // 00000000B620: 20404090
	v_cmp_u_f32_e64 s[74:75], v35, v35                         // 00000000B624: D048004A 00024723
	v_bfe_u32 v226, v35, 16, 1                                 // 00000000B62C: D1C800E2 02052123
	v_add3_u32 v226, v35, v226, v229                           // 00000000B634: D1FF00E2 0797C523
	v_cndmask_b32_e64 v33, v226, v228, s[74:75]                // 00000000B63C: D1000021 012BC9E2
	v_and_or_b32 v188, v33, v227, v32                          // 00000000B644: D20100BC 0483C721
	v_mov_b32_e32 v34, v200                                    // 00000000B64C: 7E4403C8
	v_mov_b32_e32 v35, v201                                    // 00000000B650: 7E4603C9
	v_cmp_u_f32_e64 s[74:75], v34, v34                         // 00000000B654: D048004A 00024522
	v_bfe_u32 v226, v34, 16, 1                                 // 00000000B65C: D1C800E2 02052122
	v_add3_u32 v226, v34, v226, v229                           // 00000000B664: D1FF00E2 0797C522
	v_cndmask_b32_e64 v32, v226, v228, s[74:75]                // 00000000B66C: D1000020 012BC9E2
	v_lshrrev_b32_e32 v32, 16, v32                             // 00000000B674: 20404090
	v_cmp_u_f32_e64 s[74:75], v35, v35                         // 00000000B678: D048004A 00024723
	v_bfe_u32 v226, v35, 16, 1                                 // 00000000B680: D1C800E2 02052123
	v_add3_u32 v226, v35, v226, v229                           // 00000000B688: D1FF00E2 0797C523
	v_cndmask_b32_e64 v33, v226, v228, s[74:75]                // 00000000B690: D1000021 012BC9E2
	v_and_or_b32 v189, v33, v227, v32                          // 00000000B698: D20100BD 0483C721
	v_mov_b32_e32 v34, v202                                    // 00000000B6A0: 7E4403CA
	v_mov_b32_e32 v35, v203                                    // 00000000B6A4: 7E4603CB
	v_cmp_u_f32_e64 s[74:75], v34, v34                         // 00000000B6A8: D048004A 00024522
	v_bfe_u32 v226, v34, 16, 1                                 // 00000000B6B0: D1C800E2 02052122
	v_add3_u32 v226, v34, v226, v229                           // 00000000B6B8: D1FF00E2 0797C522
	v_cndmask_b32_e64 v32, v226, v228, s[74:75]                // 00000000B6C0: D1000020 012BC9E2
	v_lshrrev_b32_e32 v32, 16, v32                             // 00000000B6C8: 20404090
	v_cmp_u_f32_e64 s[74:75], v35, v35                         // 00000000B6CC: D048004A 00024723
	v_bfe_u32 v226, v35, 16, 1                                 // 00000000B6D4: D1C800E2 02052123
	v_add3_u32 v226, v35, v226, v229                           // 00000000B6DC: D1FF00E2 0797C523
	v_cndmask_b32_e64 v33, v226, v228, s[74:75]                // 00000000B6E4: D1000021 012BC9E2
	v_and_or_b32 v190, v33, v227, v32                          // 00000000B6EC: D20100BE 0483C721
	v_mov_b32_e32 v34, v204                                    // 00000000B6F4: 7E4403CC
	v_mov_b32_e32 v35, v205                                    // 00000000B6F8: 7E4603CD
	v_cmp_u_f32_e64 s[74:75], v34, v34                         // 00000000B6FC: D048004A 00024522
	v_bfe_u32 v226, v34, 16, 1                                 // 00000000B704: D1C800E2 02052122
	v_add3_u32 v226, v34, v226, v229                           // 00000000B70C: D1FF00E2 0797C522
	v_cndmask_b32_e64 v32, v226, v228, s[74:75]                // 00000000B714: D1000020 012BC9E2
	v_lshrrev_b32_e32 v32, 16, v32                             // 00000000B71C: 20404090
	v_cmp_u_f32_e64 s[74:75], v35, v35                         // 00000000B720: D048004A 00024723
	v_bfe_u32 v226, v35, 16, 1                                 // 00000000B728: D1C800E2 02052123
	v_add3_u32 v226, v35, v226, v229                           // 00000000B730: D1FF00E2 0797C523
	v_cndmask_b32_e64 v33, v226, v228, s[74:75]                // 00000000B738: D1000021 012BC9E2
	v_and_or_b32 v191, v33, v227, v32                          // 00000000B740: D20100BF 0483C721
	v_mov_b32_e32 v34, v206                                    // 00000000B748: 7E4403CE
	v_mov_b32_e32 v35, v207                                    // 00000000B74C: 7E4603CF
	v_cmp_u_f32_e64 s[74:75], v34, v34                         // 00000000B750: D048004A 00024522
	v_bfe_u32 v226, v34, 16, 1                                 // 00000000B758: D1C800E2 02052122
	v_add3_u32 v226, v34, v226, v229                           // 00000000B760: D1FF00E2 0797C522
	v_cndmask_b32_e64 v32, v226, v228, s[74:75]                // 00000000B768: D1000020 012BC9E2
	v_lshrrev_b32_e32 v32, 16, v32                             // 00000000B770: 20404090
	v_cmp_u_f32_e64 s[74:75], v35, v35                         // 00000000B774: D048004A 00024723
	v_bfe_u32 v226, v35, 16, 1                                 // 00000000B77C: D1C800E2 02052123
	v_add3_u32 v226, v35, v226, v229                           // 00000000B784: D1FF00E2 0797C523
	v_cndmask_b32_e64 v33, v226, v228, s[74:75]                // 00000000B78C: D1000021 012BC9E2
	v_and_or_b32 v192, v33, v227, v32                          // 00000000B794: D20100C0 0483C721
	v_mov_b32_e32 v34, v208                                    // 00000000B79C: 7E4403D0
	v_mov_b32_e32 v35, v209                                    // 00000000B7A0: 7E4603D1
	v_cmp_u_f32_e64 s[74:75], v34, v34                         // 00000000B7A4: D048004A 00024522
	v_bfe_u32 v226, v34, 16, 1                                 // 00000000B7AC: D1C800E2 02052122
	v_add3_u32 v226, v34, v226, v229                           // 00000000B7B4: D1FF00E2 0797C522
	v_cndmask_b32_e64 v32, v226, v228, s[74:75]                // 00000000B7BC: D1000020 012BC9E2
	v_lshrrev_b32_e32 v32, 16, v32                             // 00000000B7C4: 20404090
	v_cmp_u_f32_e64 s[74:75], v35, v35                         // 00000000B7C8: D048004A 00024723
	v_bfe_u32 v226, v35, 16, 1                                 // 00000000B7D0: D1C800E2 02052123
	v_add3_u32 v226, v35, v226, v229                           // 00000000B7D8: D1FF00E2 0797C523
	v_cndmask_b32_e64 v33, v226, v228, s[74:75]                // 00000000B7E0: D1000021 012BC9E2
	v_and_or_b32 v193, v33, v227, v32                          // 00000000B7E8: D20100C1 0483C721
	ds_write_b64 v27, v[186:187] offset:8704                   // 00000000B7F0: D89A2200 0000BA1B
	ds_write_b64 v27, v[188:189] offset:9248                   // 00000000B7F8: D89A2420 0000BC1B
	ds_write_b64 v27, v[190:191] offset:9792                   // 00000000B800: D89A2640 0000BE1B
	ds_write_b64 v27, v[192:193] offset:10336                  // 00000000B808: D89A2860 0000C01B
	s_waitcnt lgkmcnt(0)                                       // 00000000B810: BF8CC07F
	s_barrier                                                  // 00000000B814: BF8A0000
	ds_read_b64 v[186:187], v26 offset:8704                    // 00000000B818: D8EC2200 BA00001A
	ds_read_b64 v[188:189], v26 offset:8832                    // 00000000B820: D8EC2280 BC00001A
	ds_read_b64 v[190:191], v26 offset:8768                    // 00000000B828: D8EC2240 BE00001A
	ds_read_b64 v[192:193], v26 offset:8896                    // 00000000B830: D8EC22C0 C000001A
	s_waitcnt lgkmcnt(0)                                       // 00000000B838: BF8CC07F
	s_mov_b32 s70, s53                                         // 00000000B83C: BEC60035
	buffer_store_dwordx4 v[186:189], v10, s[40:43], 0 idxen    // 00000000B840: E07C2000 800ABA0A
	s_mul_i32 s60, 2, s70                                      // 00000000B848: 923C4682
	v_add_u32_e32 v10, s60, v10                                // 00000000B84C: 6814143C
	buffer_store_dwordx4 v[190:193], v10, s[40:43], 0 idxen    // 00000000B850: E07C2000 800ABE0A
	s_mul_i32 s60, 2, s70                                      // 00000000B858: 923C4682
	v_add_u32_e32 v10, s60, v10                                // 00000000B85C: 6814143C
	s_mul_i32 s60, 12, s70                                     // 00000000B860: 923C468C
	v_add_u32_e32 v10, s60, v10                                // 00000000B864: 6814143C
	s_cmp_ge_i32 2, s73                                        // 00000000B868: BF034982
	s_cbranch_scc1 label_1F08                                  // 00000000B86C: BF8500C8
	v_mov_b32_e32 v34, v210                                    // 00000000B870: 7E4403D2
	v_mov_b32_e32 v35, v211                                    // 00000000B874: 7E4603D3
	v_cmp_u_f32_e64 s[74:75], v34, v34                         // 00000000B878: D048004A 00024522
	v_bfe_u32 v226, v34, 16, 1                                 // 00000000B880: D1C800E2 02052122
	v_add3_u32 v226, v34, v226, v229                           // 00000000B888: D1FF00E2 0797C522
	v_cndmask_b32_e64 v32, v226, v228, s[74:75]                // 00000000B890: D1000020 012BC9E2
	v_lshrrev_b32_e32 v32, 16, v32                             // 00000000B898: 20404090
	v_cmp_u_f32_e64 s[74:75], v35, v35                         // 00000000B89C: D048004A 00024723
	v_bfe_u32 v226, v35, 16, 1                                 // 00000000B8A4: D1C800E2 02052123
	v_add3_u32 v226, v35, v226, v229                           // 00000000B8AC: D1FF00E2 0797C523
	v_cndmask_b32_e64 v33, v226, v228, s[74:75]                // 00000000B8B4: D1000021 012BC9E2
	v_and_or_b32 v194, v33, v227, v32                          // 00000000B8BC: D20100C2 0483C721
	v_mov_b32_e32 v34, v212                                    // 00000000B8C4: 7E4403D4
	v_mov_b32_e32 v35, v213                                    // 00000000B8C8: 7E4603D5
	v_cmp_u_f32_e64 s[74:75], v34, v34                         // 00000000B8CC: D048004A 00024522
	v_bfe_u32 v226, v34, 16, 1                                 // 00000000B8D4: D1C800E2 02052122
	v_add3_u32 v226, v34, v226, v229                           // 00000000B8DC: D1FF00E2 0797C522
	v_cndmask_b32_e64 v32, v226, v228, s[74:75]                // 00000000B8E4: D1000020 012BC9E2
	v_lshrrev_b32_e32 v32, 16, v32                             // 00000000B8EC: 20404090
	v_cmp_u_f32_e64 s[74:75], v35, v35                         // 00000000B8F0: D048004A 00024723
	v_bfe_u32 v226, v35, 16, 1                                 // 00000000B8F8: D1C800E2 02052123
	v_add3_u32 v226, v35, v226, v229                           // 00000000B900: D1FF00E2 0797C523
	v_cndmask_b32_e64 v33, v226, v228, s[74:75]                // 00000000B908: D1000021 012BC9E2
	v_and_or_b32 v195, v33, v227, v32                          // 00000000B910: D20100C3 0483C721
	v_mov_b32_e32 v34, v214                                    // 00000000B918: 7E4403D6
	v_mov_b32_e32 v35, v215                                    // 00000000B91C: 7E4603D7
	v_cmp_u_f32_e64 s[74:75], v34, v34                         // 00000000B920: D048004A 00024522
	v_bfe_u32 v226, v34, 16, 1                                 // 00000000B928: D1C800E2 02052122
	v_add3_u32 v226, v34, v226, v229                           // 00000000B930: D1FF00E2 0797C522
	v_cndmask_b32_e64 v32, v226, v228, s[74:75]                // 00000000B938: D1000020 012BC9E2
	v_lshrrev_b32_e32 v32, 16, v32                             // 00000000B940: 20404090
	v_cmp_u_f32_e64 s[74:75], v35, v35                         // 00000000B944: D048004A 00024723
	v_bfe_u32 v226, v35, 16, 1                                 // 00000000B94C: D1C800E2 02052123
	v_add3_u32 v226, v35, v226, v229                           // 00000000B954: D1FF00E2 0797C523
	v_cndmask_b32_e64 v33, v226, v228, s[74:75]                // 00000000B95C: D1000021 012BC9E2
	v_and_or_b32 v196, v33, v227, v32                          // 00000000B964: D20100C4 0483C721
	v_mov_b32_e32 v34, v216                                    // 00000000B96C: 7E4403D8
	v_mov_b32_e32 v35, v217                                    // 00000000B970: 7E4603D9
	v_cmp_u_f32_e64 s[74:75], v34, v34                         // 00000000B974: D048004A 00024522
	v_bfe_u32 v226, v34, 16, 1                                 // 00000000B97C: D1C800E2 02052122
	v_add3_u32 v226, v34, v226, v229                           // 00000000B984: D1FF00E2 0797C522
	v_cndmask_b32_e64 v32, v226, v228, s[74:75]                // 00000000B98C: D1000020 012BC9E2
	v_lshrrev_b32_e32 v32, 16, v32                             // 00000000B994: 20404090
	v_cmp_u_f32_e64 s[74:75], v35, v35                         // 00000000B998: D048004A 00024723
	v_bfe_u32 v226, v35, 16, 1                                 // 00000000B9A0: D1C800E2 02052123
	v_add3_u32 v226, v35, v226, v229                           // 00000000B9A8: D1FF00E2 0797C523
	v_cndmask_b32_e64 v33, v226, v228, s[74:75]                // 00000000B9B0: D1000021 012BC9E2
	v_and_or_b32 v197, v33, v227, v32                          // 00000000B9B8: D20100C5 0483C721
	v_mov_b32_e32 v34, v218                                    // 00000000B9C0: 7E4403DA
	v_mov_b32_e32 v35, v219                                    // 00000000B9C4: 7E4603DB
	v_cmp_u_f32_e64 s[74:75], v34, v34                         // 00000000B9C8: D048004A 00024522
	v_bfe_u32 v226, v34, 16, 1                                 // 00000000B9D0: D1C800E2 02052122
	v_add3_u32 v226, v34, v226, v229                           // 00000000B9D8: D1FF00E2 0797C522
	v_cndmask_b32_e64 v32, v226, v228, s[74:75]                // 00000000B9E0: D1000020 012BC9E2
	v_lshrrev_b32_e32 v32, 16, v32                             // 00000000B9E8: 20404090
	v_cmp_u_f32_e64 s[74:75], v35, v35                         // 00000000B9EC: D048004A 00024723
	v_bfe_u32 v226, v35, 16, 1                                 // 00000000B9F4: D1C800E2 02052123
	v_add3_u32 v226, v35, v226, v229                           // 00000000B9FC: D1FF00E2 0797C523
	v_cndmask_b32_e64 v33, v226, v228, s[74:75]                // 00000000BA04: D1000021 012BC9E2
	v_and_or_b32 v198, v33, v227, v32                          // 00000000BA0C: D20100C6 0483C721
	v_mov_b32_e32 v34, v220                                    // 00000000BA14: 7E4403DC
	v_mov_b32_e32 v35, v221                                    // 00000000BA18: 7E4603DD
	v_cmp_u_f32_e64 s[74:75], v34, v34                         // 00000000BA1C: D048004A 00024522
	v_bfe_u32 v226, v34, 16, 1                                 // 00000000BA24: D1C800E2 02052122
	v_add3_u32 v226, v34, v226, v229                           // 00000000BA2C: D1FF00E2 0797C522
	v_cndmask_b32_e64 v32, v226, v228, s[74:75]                // 00000000BA34: D1000020 012BC9E2
	v_lshrrev_b32_e32 v32, 16, v32                             // 00000000BA3C: 20404090
	v_cmp_u_f32_e64 s[74:75], v35, v35                         // 00000000BA40: D048004A 00024723
	v_bfe_u32 v226, v35, 16, 1                                 // 00000000BA48: D1C800E2 02052123
	v_add3_u32 v226, v35, v226, v229                           // 00000000BA50: D1FF00E2 0797C523
	v_cndmask_b32_e64 v33, v226, v228, s[74:75]                // 00000000BA58: D1000021 012BC9E2
	v_and_or_b32 v199, v33, v227, v32                          // 00000000BA60: D20100C7 0483C721
	v_mov_b32_e32 v34, v222                                    // 00000000BA68: 7E4403DE
	v_mov_b32_e32 v35, v223                                    // 00000000BA6C: 7E4603DF
	v_cmp_u_f32_e64 s[74:75], v34, v34                         // 00000000BA70: D048004A 00024522
	v_bfe_u32 v226, v34, 16, 1                                 // 00000000BA78: D1C800E2 02052122
	v_add3_u32 v226, v34, v226, v229                           // 00000000BA80: D1FF00E2 0797C522
	v_cndmask_b32_e64 v32, v226, v228, s[74:75]                // 00000000BA88: D1000020 012BC9E2
	v_lshrrev_b32_e32 v32, 16, v32                             // 00000000BA90: 20404090
	v_cmp_u_f32_e64 s[74:75], v35, v35                         // 00000000BA94: D048004A 00024723
	v_bfe_u32 v226, v35, 16, 1                                 // 00000000BA9C: D1C800E2 02052123
	v_add3_u32 v226, v35, v226, v229                           // 00000000BAA4: D1FF00E2 0797C523
	v_cndmask_b32_e64 v33, v226, v228, s[74:75]                // 00000000BAAC: D1000021 012BC9E2
	v_and_or_b32 v200, v33, v227, v32                          // 00000000BAB4: D20100C8 0483C721
	v_mov_b32_e32 v34, v224                                    // 00000000BABC: 7E4403E0
	v_mov_b32_e32 v35, v225                                    // 00000000BAC0: 7E4603E1
	v_cmp_u_f32_e64 s[74:75], v34, v34                         // 00000000BAC4: D048004A 00024522
	v_bfe_u32 v226, v34, 16, 1                                 // 00000000BACC: D1C800E2 02052122
	v_add3_u32 v226, v34, v226, v229                           // 00000000BAD4: D1FF00E2 0797C522
	v_cndmask_b32_e64 v32, v226, v228, s[74:75]                // 00000000BADC: D1000020 012BC9E2
	v_lshrrev_b32_e32 v32, 16, v32                             // 00000000BAE4: 20404090
	v_cmp_u_f32_e64 s[74:75], v35, v35                         // 00000000BAE8: D048004A 00024723
	v_bfe_u32 v226, v35, 16, 1                                 // 00000000BAF0: D1C800E2 02052123
	v_add3_u32 v226, v35, v226, v229                           // 00000000BAF8: D1FF00E2 0797C523
	v_cndmask_b32_e64 v33, v226, v228, s[74:75]                // 00000000BB00: D1000021 012BC9E2
	v_and_or_b32 v201, v33, v227, v32                          // 00000000BB08: D20100C9 0483C721
	ds_write_b64 v27, v[194:195] offset:17408                  // 00000000BB10: D89A4400 0000C21B
	ds_write_b64 v27, v[196:197] offset:17952                  // 00000000BB18: D89A4620 0000C41B
	ds_write_b64 v27, v[198:199] offset:18496                  // 00000000BB20: D89A4840 0000C61B
	ds_write_b64 v27, v[200:201] offset:19040                  // 00000000BB28: D89A4A60 0000C81B
	s_waitcnt lgkmcnt(0)                                       // 00000000BB30: BF8CC07F
	s_barrier                                                  // 00000000BB34: BF8A0000
	ds_read_b64 v[194:195], v26 offset:17408                   // 00000000BB38: D8EC4400 C200001A
	ds_read_b64 v[196:197], v26 offset:17536                   // 00000000BB40: D8EC4480 C400001A
	ds_read_b64 v[198:199], v26 offset:17472                   // 00000000BB48: D8EC4440 C600001A
	ds_read_b64 v[200:201], v26 offset:17600                   // 00000000BB50: D8EC44C0 C800001A
	s_waitcnt lgkmcnt(0)                                       // 00000000BB58: BF8CC07F
	s_mov_b32 s70, s53                                         // 00000000BB5C: BEC60035
	buffer_store_dwordx4 v[194:197], v10, s[40:43], 0 idxen    // 00000000BB60: E07C2000 800AC20A
	s_mul_i32 s60, 2, s70                                      // 00000000BB68: 923C4682
	v_add_u32_e32 v10, s60, v10                                // 00000000BB6C: 6814143C
	buffer_store_dwordx4 v[198:201], v10, s[40:43], 0 idxen    // 00000000BB70: E07C2000 800AC60A
	s_mul_i32 s60, 2, s70                                      // 00000000BB78: 923C4682
	v_add_u32_e32 v10, s60, v10                                // 00000000BB7C: 6814143C
	s_mul_i32 s60, 12, s70                                     // 00000000BB80: 923C468C
	v_add_u32_e32 v10, s60, v10                                // 00000000BB84: 6814143C
	s_cmp_ge_i32 3, s73                                        // 00000000BB88: BF034983
	s_cbranch_scc1 label_1F08                                  // 00000000BB8C: BF850000

000000000000bb90 <label_1F08>:
	s_waitcnt vmcnt(0) expcnt(0) lgkmcnt(0)                    // 00000000BB90: BF8C0000
	s_endpgm                                                   // 00000000BB94: BF810000
